;; amdgpu-corpus repo=ROCm/rocFFT kind=compiled arch=gfx906 opt=O3
	.text
	.amdgcn_target "amdgcn-amd-amdhsa--gfx906"
	.amdhsa_code_object_version 6
	.protected	fft_rtc_fwd_len2023_factors_17_7_17_wgs_119_tpt_119_halfLds_half_op_CI_CI_sbrr_dirReg ; -- Begin function fft_rtc_fwd_len2023_factors_17_7_17_wgs_119_tpt_119_halfLds_half_op_CI_CI_sbrr_dirReg
	.globl	fft_rtc_fwd_len2023_factors_17_7_17_wgs_119_tpt_119_halfLds_half_op_CI_CI_sbrr_dirReg
	.p2align	8
	.type	fft_rtc_fwd_len2023_factors_17_7_17_wgs_119_tpt_119_halfLds_half_op_CI_CI_sbrr_dirReg,@function
fft_rtc_fwd_len2023_factors_17_7_17_wgs_119_tpt_119_halfLds_half_op_CI_CI_sbrr_dirReg: ; @fft_rtc_fwd_len2023_factors_17_7_17_wgs_119_tpt_119_halfLds_half_op_CI_CI_sbrr_dirReg
; %bb.0:
	s_load_dwordx4 s[16:19], s[4:5], 0x18
	s_load_dwordx4 s[12:15], s[4:5], 0x0
	;; [unrolled: 1-line block ×3, first 2 shown]
	v_mul_u32_u24_e32 v1, 0x227, v0
	v_add_u32_sdwa v10, s6, v1 dst_sel:DWORD dst_unused:UNUSED_PAD src0_sel:DWORD src1_sel:WORD_1
	s_waitcnt lgkmcnt(0)
	s_load_dwordx2 s[20:21], s[16:17], 0x0
	s_load_dwordx2 s[2:3], s[18:19], 0x0
	v_cmp_lt_u64_e64 s[0:1], s[14:15], 2
	v_mov_b32_e32 v8, 0
	v_mov_b32_e32 v1, 0
	;; [unrolled: 1-line block ×3, first 2 shown]
	s_and_b64 vcc, exec, s[0:1]
	v_mov_b32_e32 v2, 0
	s_cbranch_vccnz .LBB0_8
; %bb.1:
	s_load_dwordx2 s[0:1], s[4:5], 0x10
	s_add_u32 s6, s18, 8
	s_addc_u32 s7, s19, 0
	s_add_u32 s22, s16, 8
	v_mov_b32_e32 v1, 0
	s_addc_u32 s23, s17, 0
	v_mov_b32_e32 v2, 0
	s_waitcnt lgkmcnt(0)
	s_add_u32 s24, s0, 8
	v_mov_b32_e32 v5, v2
	s_addc_u32 s25, s1, 0
	s_mov_b64 s[26:27], 1
	v_mov_b32_e32 v4, v1
.LBB0_2:                                ; =>This Inner Loop Header: Depth=1
	s_load_dwordx2 s[28:29], s[24:25], 0x0
                                        ; implicit-def: $vgpr6_vgpr7
	s_waitcnt lgkmcnt(0)
	v_or_b32_e32 v9, s29, v11
	v_cmp_ne_u64_e32 vcc, 0, v[8:9]
	s_and_saveexec_b64 s[0:1], vcc
	s_xor_b64 s[30:31], exec, s[0:1]
	s_cbranch_execz .LBB0_4
; %bb.3:                                ;   in Loop: Header=BB0_2 Depth=1
	v_cvt_f32_u32_e32 v3, s28
	v_cvt_f32_u32_e32 v6, s29
	s_sub_u32 s0, 0, s28
	s_subb_u32 s1, 0, s29
	v_mac_f32_e32 v3, 0x4f800000, v6
	v_rcp_f32_e32 v3, v3
	v_mul_f32_e32 v3, 0x5f7ffffc, v3
	v_mul_f32_e32 v6, 0x2f800000, v3
	v_trunc_f32_e32 v6, v6
	v_mac_f32_e32 v3, 0xcf800000, v6
	v_cvt_u32_f32_e32 v6, v6
	v_cvt_u32_f32_e32 v3, v3
	v_mul_lo_u32 v7, s0, v6
	v_mul_hi_u32 v9, s0, v3
	v_mul_lo_u32 v13, s1, v3
	v_mul_lo_u32 v12, s0, v3
	v_add_u32_e32 v7, v9, v7
	v_add_u32_e32 v7, v7, v13
	v_mul_hi_u32 v9, v3, v12
	v_mul_lo_u32 v13, v3, v7
	v_mul_hi_u32 v15, v3, v7
	v_mul_hi_u32 v14, v6, v12
	v_mul_lo_u32 v12, v6, v12
	v_mul_hi_u32 v16, v6, v7
	v_add_co_u32_e32 v9, vcc, v9, v13
	v_addc_co_u32_e32 v13, vcc, 0, v15, vcc
	v_mul_lo_u32 v7, v6, v7
	v_add_co_u32_e32 v9, vcc, v9, v12
	v_addc_co_u32_e32 v9, vcc, v13, v14, vcc
	v_addc_co_u32_e32 v12, vcc, 0, v16, vcc
	v_add_co_u32_e32 v7, vcc, v9, v7
	v_addc_co_u32_e32 v9, vcc, 0, v12, vcc
	v_add_co_u32_e32 v3, vcc, v3, v7
	v_addc_co_u32_e32 v6, vcc, v6, v9, vcc
	v_mul_lo_u32 v7, s0, v6
	v_mul_hi_u32 v9, s0, v3
	v_mul_lo_u32 v12, s1, v3
	v_mul_lo_u32 v13, s0, v3
	v_add_u32_e32 v7, v9, v7
	v_add_u32_e32 v7, v7, v12
	v_mul_lo_u32 v14, v3, v7
	v_mul_hi_u32 v15, v3, v13
	v_mul_hi_u32 v16, v3, v7
	;; [unrolled: 1-line block ×3, first 2 shown]
	v_mul_lo_u32 v13, v6, v13
	v_mul_hi_u32 v9, v6, v7
	v_add_co_u32_e32 v14, vcc, v15, v14
	v_addc_co_u32_e32 v15, vcc, 0, v16, vcc
	v_mul_lo_u32 v7, v6, v7
	v_add_co_u32_e32 v13, vcc, v14, v13
	v_addc_co_u32_e32 v12, vcc, v15, v12, vcc
	v_addc_co_u32_e32 v9, vcc, 0, v9, vcc
	v_add_co_u32_e32 v7, vcc, v12, v7
	v_addc_co_u32_e32 v9, vcc, 0, v9, vcc
	v_add_co_u32_e32 v3, vcc, v3, v7
	v_addc_co_u32_e32 v9, vcc, v6, v9, vcc
	v_mad_u64_u32 v[6:7], s[0:1], v10, v9, 0
	v_mul_hi_u32 v12, v10, v3
	v_add_co_u32_e32 v14, vcc, v12, v6
	v_addc_co_u32_e32 v15, vcc, 0, v7, vcc
	v_mad_u64_u32 v[6:7], s[0:1], v11, v3, 0
	v_mad_u64_u32 v[12:13], s[0:1], v11, v9, 0
	v_add_co_u32_e32 v3, vcc, v14, v6
	v_addc_co_u32_e32 v3, vcc, v15, v7, vcc
	v_addc_co_u32_e32 v6, vcc, 0, v13, vcc
	v_add_co_u32_e32 v3, vcc, v3, v12
	v_addc_co_u32_e32 v9, vcc, 0, v6, vcc
	v_mul_lo_u32 v12, s29, v3
	v_mul_lo_u32 v13, s28, v9
	v_mad_u64_u32 v[6:7], s[0:1], s28, v3, 0
	v_add3_u32 v7, v7, v13, v12
	v_sub_u32_e32 v12, v11, v7
	v_mov_b32_e32 v13, s29
	v_sub_co_u32_e32 v6, vcc, v10, v6
	v_subb_co_u32_e64 v12, s[0:1], v12, v13, vcc
	v_subrev_co_u32_e64 v13, s[0:1], s28, v6
	v_subbrev_co_u32_e64 v12, s[0:1], 0, v12, s[0:1]
	v_cmp_le_u32_e64 s[0:1], s29, v12
	v_cndmask_b32_e64 v14, 0, -1, s[0:1]
	v_cmp_le_u32_e64 s[0:1], s28, v13
	v_cndmask_b32_e64 v13, 0, -1, s[0:1]
	v_cmp_eq_u32_e64 s[0:1], s29, v12
	v_cndmask_b32_e64 v12, v14, v13, s[0:1]
	v_add_co_u32_e64 v13, s[0:1], 2, v3
	v_addc_co_u32_e64 v14, s[0:1], 0, v9, s[0:1]
	v_add_co_u32_e64 v15, s[0:1], 1, v3
	v_addc_co_u32_e64 v16, s[0:1], 0, v9, s[0:1]
	v_subb_co_u32_e32 v7, vcc, v11, v7, vcc
	v_cmp_ne_u32_e64 s[0:1], 0, v12
	v_cmp_le_u32_e32 vcc, s29, v7
	v_cndmask_b32_e64 v12, v16, v14, s[0:1]
	v_cndmask_b32_e64 v14, 0, -1, vcc
	v_cmp_le_u32_e32 vcc, s28, v6
	v_cndmask_b32_e64 v6, 0, -1, vcc
	v_cmp_eq_u32_e32 vcc, s29, v7
	v_cndmask_b32_e32 v6, v14, v6, vcc
	v_cmp_ne_u32_e32 vcc, 0, v6
	v_cndmask_b32_e64 v6, v15, v13, s[0:1]
	v_cndmask_b32_e32 v7, v9, v12, vcc
	v_cndmask_b32_e32 v6, v3, v6, vcc
.LBB0_4:                                ;   in Loop: Header=BB0_2 Depth=1
	s_andn2_saveexec_b64 s[0:1], s[30:31]
	s_cbranch_execz .LBB0_6
; %bb.5:                                ;   in Loop: Header=BB0_2 Depth=1
	v_cvt_f32_u32_e32 v3, s28
	s_sub_i32 s30, 0, s28
	v_rcp_iflag_f32_e32 v3, v3
	v_mul_f32_e32 v3, 0x4f7ffffe, v3
	v_cvt_u32_f32_e32 v3, v3
	v_mul_lo_u32 v6, s30, v3
	v_mul_hi_u32 v6, v3, v6
	v_add_u32_e32 v3, v3, v6
	v_mul_hi_u32 v3, v10, v3
	v_mul_lo_u32 v6, v3, s28
	v_add_u32_e32 v7, 1, v3
	v_sub_u32_e32 v6, v10, v6
	v_subrev_u32_e32 v9, s28, v6
	v_cmp_le_u32_e32 vcc, s28, v6
	v_cndmask_b32_e32 v6, v6, v9, vcc
	v_cndmask_b32_e32 v3, v3, v7, vcc
	v_add_u32_e32 v7, 1, v3
	v_cmp_le_u32_e32 vcc, s28, v6
	v_cndmask_b32_e32 v6, v3, v7, vcc
	v_mov_b32_e32 v7, v8
.LBB0_6:                                ;   in Loop: Header=BB0_2 Depth=1
	s_or_b64 exec, exec, s[0:1]
	v_mul_lo_u32 v3, v7, s28
	v_mul_lo_u32 v9, v6, s29
	v_mad_u64_u32 v[12:13], s[0:1], v6, s28, 0
	s_load_dwordx2 s[0:1], s[22:23], 0x0
	s_load_dwordx2 s[28:29], s[6:7], 0x0
	v_add3_u32 v3, v13, v9, v3
	v_sub_co_u32_e32 v9, vcc, v10, v12
	v_subb_co_u32_e32 v3, vcc, v11, v3, vcc
	s_waitcnt lgkmcnt(0)
	v_mul_lo_u32 v10, s0, v3
	v_mul_lo_u32 v11, s1, v9
	v_mad_u64_u32 v[1:2], s[0:1], s0, v9, v[1:2]
	s_add_u32 s26, s26, 1
	s_addc_u32 s27, s27, 0
	s_add_u32 s6, s6, 8
	v_mul_lo_u32 v3, s28, v3
	v_mul_lo_u32 v12, s29, v9
	v_mad_u64_u32 v[4:5], s[0:1], s28, v9, v[4:5]
	v_add3_u32 v2, v11, v2, v10
	s_addc_u32 s7, s7, 0
	v_mov_b32_e32 v9, s14
	s_add_u32 s22, s22, 8
	v_mov_b32_e32 v10, s15
	s_addc_u32 s23, s23, 0
	v_cmp_ge_u64_e32 vcc, s[26:27], v[9:10]
	s_add_u32 s24, s24, 8
	v_add3_u32 v5, v12, v5, v3
	s_addc_u32 s25, s25, 0
	s_cbranch_vccnz .LBB0_9
; %bb.7:                                ;   in Loop: Header=BB0_2 Depth=1
	v_mov_b32_e32 v11, v7
	v_mov_b32_e32 v10, v6
	s_branch .LBB0_2
.LBB0_8:
	v_mov_b32_e32 v5, v2
	v_mov_b32_e32 v6, v10
	;; [unrolled: 1-line block ×4, first 2 shown]
.LBB0_9:
	s_load_dwordx2 s[0:1], s[4:5], 0x28
	s_lshl_b64 s[14:15], s[14:15], 3
	s_add_u32 s4, s18, s14
	s_addc_u32 s5, s19, s15
                                        ; implicit-def: $sgpr18
                                        ; implicit-def: $vgpr9
                                        ; implicit-def: $vgpr11
                                        ; implicit-def: $vgpr10
	s_waitcnt lgkmcnt(0)
	v_cmp_gt_u64_e32 vcc, s[0:1], v[6:7]
	v_cmp_le_u64_e64 s[0:1], s[0:1], v[6:7]
	s_and_saveexec_b64 s[6:7], s[0:1]
	s_xor_b64 s[0:1], exec, s[6:7]
; %bb.10:
	s_mov_b32 s6, 0x226b903
	v_mul_hi_u32 v1, v0, s6
	s_mov_b32 s18, 0
	v_mul_u32_u24_e32 v1, 0x77, v1
	v_sub_u32_e32 v9, v0, v1
	v_add_u32_e32 v11, 0x77, v9
	v_add_u32_e32 v10, 0xee, v9
                                        ; implicit-def: $vgpr0
                                        ; implicit-def: $vgpr1_vgpr2
; %bb.11:
	s_or_saveexec_b64 s[6:7], s[0:1]
	v_mov_b32_e32 v8, s18
	v_mov_b32_e32 v15, s18
                                        ; implicit-def: $vgpr62
                                        ; implicit-def: $vgpr22
                                        ; implicit-def: $vgpr60
                                        ; implicit-def: $vgpr21
                                        ; implicit-def: $vgpr58
                                        ; implicit-def: $vgpr20
                                        ; implicit-def: $vgpr54
                                        ; implicit-def: $vgpr19
                                        ; implicit-def: $vgpr51
                                        ; implicit-def: $vgpr18
                                        ; implicit-def: $vgpr50
                                        ; implicit-def: $vgpr17
                                        ; implicit-def: $vgpr49
                                        ; implicit-def: $vgpr3
                                        ; implicit-def: $vgpr46
                                        ; implicit-def: $vgpr26
                                        ; implicit-def: $vgpr48
                                        ; implicit-def: $vgpr27
                                        ; implicit-def: $vgpr53
                                        ; implicit-def: $vgpr45
                                        ; implicit-def: $vgpr65
                                        ; implicit-def: $vgpr55
                                        ; implicit-def: $vgpr67
                                        ; implicit-def: $vgpr59
                                        ; implicit-def: $vgpr68
                                        ; implicit-def: $vgpr66
                                        ; implicit-def: $vgpr64
                                        ; implicit-def: $vgpr56
                                        ; implicit-def: $vgpr63
                                        ; implicit-def: $vgpr52
                                        ; implicit-def: $vgpr57
                                        ; implicit-def: $vgpr47
	s_xor_b64 exec, exec, s[6:7]
	s_cbranch_execz .LBB0_13
; %bb.12:
	s_add_u32 s0, s16, s14
	s_addc_u32 s1, s17, s15
	s_mov_b32 s14, 0x226b903
	v_mul_hi_u32 v3, v0, s14
	s_load_dwordx2 s[0:1], s[0:1], 0x0
	v_mul_u32_u24_e32 v3, 0x77, v3
	v_sub_u32_e32 v9, v0, v3
	s_waitcnt lgkmcnt(0)
	v_mul_lo_u32 v3, s1, v6
	v_mul_lo_u32 v8, s0, v7
	v_mad_u64_u32 v[10:11], s[0:1], s0, v6, 0
	v_mad_u64_u32 v[12:13], s[14:15], s20, v9, 0
	v_add3_u32 v11, v11, v8, v3
	v_lshlrev_b64 v[10:11], 2, v[10:11]
	v_mov_b32_e32 v0, v13
	v_mad_u64_u32 v[13:14], s[0:1], s21, v9, v[0:1]
	v_mov_b32_e32 v0, s9
	v_add_co_u32_e64 v8, s[0:1], s8, v10
	v_addc_co_u32_e64 v10, s[0:1], v0, v11, s[0:1]
	v_add_u32_e32 v11, 0x77, v9
	v_lshlrev_b64 v[0:1], 2, v[1:2]
	v_mad_u64_u32 v[2:3], s[0:1], s20, v11, 0
	v_add_co_u32_e64 v40, s[0:1], v8, v0
	v_mov_b32_e32 v0, v3
	v_addc_co_u32_e64 v41, s[0:1], v10, v1, s[0:1]
	v_mad_u64_u32 v[0:1], s[0:1], s21, v11, v[0:1]
	v_add_u32_e32 v10, 0xee, v9
	v_mad_u64_u32 v[14:15], s[0:1], s20, v10, 0
	v_mov_b32_e32 v3, v0
	v_lshlrev_b64 v[0:1], 2, v[2:3]
	v_mov_b32_e32 v2, v15
	v_add_u32_e32 v18, 0x165, v9
	v_mad_u64_u32 v[2:3], s[0:1], s21, v10, v[2:3]
	v_mad_u64_u32 v[16:17], s[0:1], s20, v18, 0
	v_add_co_u32_e64 v0, s[0:1], v40, v0
	v_mov_b32_e32 v15, v2
	v_mov_b32_e32 v8, v17
	v_addc_co_u32_e64 v1, s[0:1], v41, v1, s[0:1]
	v_lshlrev_b64 v[2:3], 2, v[14:15]
	v_mad_u64_u32 v[14:15], s[0:1], s21, v18, v[8:9]
	v_add_u32_e32 v15, 0x1dc, v9
	v_mad_u64_u32 v[18:19], s[0:1], s20, v15, 0
	v_add_co_u32_e64 v23, s[0:1], v40, v2
	v_mov_b32_e32 v17, v14
	v_mov_b32_e32 v8, v19
	v_addc_co_u32_e64 v24, s[0:1], v41, v3, s[0:1]
	v_lshlrev_b64 v[2:3], 2, v[16:17]
	v_mad_u64_u32 v[14:15], s[0:1], s21, v15, v[8:9]
	v_add_u32_e32 v17, 0x253, v9
	v_mad_u64_u32 v[15:16], s[0:1], s20, v17, 0
	v_add_co_u32_e64 v25, s[0:1], v40, v2
	v_mov_b32_e32 v8, v16
	v_addc_co_u32_e64 v26, s[0:1], v41, v3, s[0:1]
	v_mov_b32_e32 v19, v14
	v_mad_u64_u32 v[16:17], s[0:1], s21, v17, v[8:9]
	v_add_u32_e32 v14, 0x2ca, v9
	v_lshlrev_b64 v[2:3], 2, v[18:19]
	v_mad_u64_u32 v[17:18], s[0:1], s20, v14, 0
	v_add_co_u32_e64 v27, s[0:1], v40, v2
	v_mov_b32_e32 v8, v18
	v_addc_co_u32_e64 v28, s[0:1], v41, v3, s[0:1]
	v_lshlrev_b64 v[2:3], 2, v[15:16]
	v_mad_u64_u32 v[14:15], s[0:1], s21, v14, v[8:9]
	v_add_u32_e32 v19, 0x341, v9
	v_mad_u64_u32 v[15:16], s[0:1], s20, v19, 0
	v_add_co_u32_e64 v29, s[0:1], v40, v2
	v_mov_b32_e32 v18, v14
	v_mov_b32_e32 v8, v16
	v_addc_co_u32_e64 v30, s[0:1], v41, v3, s[0:1]
	v_lshlrev_b64 v[2:3], 2, v[17:18]
	v_mad_u64_u32 v[16:17], s[0:1], s21, v19, v[8:9]
	v_add_co_u32_e64 v31, s[0:1], v40, v2
	v_add_u32_e32 v8, 0x3b8, v9
	v_addc_co_u32_e64 v32, s[0:1], v41, v3, s[0:1]
	v_lshlrev_b64 v[2:3], 2, v[15:16]
	v_mad_u64_u32 v[14:15], s[0:1], s20, v8, 0
	v_add_co_u32_e64 v33, s[0:1], v40, v2
	v_mov_b32_e32 v2, v15
	v_addc_co_u32_e64 v34, s[0:1], v41, v3, s[0:1]
	v_mad_u64_u32 v[2:3], s[0:1], s21, v8, v[2:3]
	global_load_dword v22, v[0:1], off
	global_load_dword v21, v[23:24], off
	;; [unrolled: 1-line block ×7, first 2 shown]
	v_add_u32_e32 v8, 0x42f, v9
	v_mad_u64_u32 v[35:36], s[0:1], s20, v8, 0
	v_mov_b32_e32 v15, v2
	v_lshlrev_b64 v[0:1], 2, v[14:15]
	v_mov_b32_e32 v2, v36
	v_lshlrev_b64 v[12:13], 2, v[12:13]
	s_waitcnt vmcnt(6)
	v_lshrrev_b32_e32 v62, 16, v22
	s_waitcnt vmcnt(5)
	v_lshrrev_b32_e32 v60, 16, v21
	;; [unrolled: 2-line block ×6, first 2 shown]
	s_waitcnt vmcnt(0)
	v_mad_u64_u32 v[14:15], s[0:1], s21, v8, v[2:3]
	v_add_u32_e32 v8, 0x4a6, v9
	v_mad_u64_u32 v[15:16], s[0:1], s20, v8, 0
	v_add_co_u32_e64 v0, s[0:1], v40, v0
	v_mov_b32_e32 v2, v16
	v_addc_co_u32_e64 v1, s[0:1], v41, v1, s[0:1]
	v_mad_u64_u32 v[25:26], s[0:1], s21, v8, v[2:3]
	v_add_u32_e32 v8, 0x51d, v9
	v_mad_u64_u32 v[26:27], s[0:1], s20, v8, 0
	v_mov_b32_e32 v36, v14
	v_lshlrev_b64 v[23:24], 2, v[35:36]
	v_mov_b32_e32 v2, v27
	v_add_co_u32_e64 v23, s[0:1], v40, v23
	v_addc_co_u32_e64 v24, s[0:1], v41, v24, s[0:1]
	v_mad_u64_u32 v[27:28], s[0:1], s21, v8, v[2:3]
	v_add_u32_e32 v8, 0x594, v9
	v_mad_u64_u32 v[28:29], s[0:1], s20, v8, 0
	v_mov_b32_e32 v16, v25
	v_lshlrev_b64 v[14:15], 2, v[15:16]
	v_mov_b32_e32 v2, v29
	v_add_co_u32_e64 v14, s[0:1], v40, v14
	v_addc_co_u32_e64 v15, s[0:1], v41, v15, s[0:1]
	v_mad_u64_u32 v[29:30], s[0:1], s21, v8, v[2:3]
	v_add_u32_e32 v8, 0x60b, v9
	v_mad_u64_u32 v[30:31], s[0:1], s20, v8, 0
	v_lshlrev_b64 v[25:26], 2, v[26:27]
	v_lshrrev_b32_e32 v49, 16, v3
	v_add_co_u32_e64 v32, s[0:1], v40, v25
	v_mov_b32_e32 v2, v31
	v_addc_co_u32_e64 v33, s[0:1], v41, v26, s[0:1]
	v_lshlrev_b64 v[25:26], 2, v[28:29]
	v_mad_u64_u32 v[27:28], s[0:1], s21, v8, v[2:3]
	v_add_u32_e32 v8, 0x682, v9
	v_mad_u64_u32 v[28:29], s[0:1], s20, v8, 0
	v_add_co_u32_e64 v34, s[0:1], v40, v25
	v_mov_b32_e32 v31, v27
	v_mov_b32_e32 v2, v29
	v_addc_co_u32_e64 v35, s[0:1], v41, v26, s[0:1]
	v_lshlrev_b64 v[25:26], 2, v[30:31]
	v_mad_u64_u32 v[29:30], s[0:1], s21, v8, v[2:3]
	v_add_u32_e32 v8, 0x6f9, v9
	v_mad_u64_u32 v[30:31], s[0:1], s20, v8, 0
	v_add_co_u32_e64 v36, s[0:1], v40, v25
	v_mov_b32_e32 v2, v31
	v_addc_co_u32_e64 v37, s[0:1], v41, v26, s[0:1]
	v_lshlrev_b64 v[25:26], 2, v[28:29]
	v_mad_u64_u32 v[27:28], s[0:1], s21, v8, v[2:3]
	v_add_co_u32_e64 v28, s[0:1], v40, v25
	v_mov_b32_e32 v31, v27
	v_add_u32_e32 v8, 0x770, v9
	v_addc_co_u32_e64 v29, s[0:1], v41, v26, s[0:1]
	v_lshlrev_b64 v[25:26], 2, v[30:31]
	v_mad_u64_u32 v[30:31], s[0:1], s20, v8, 0
	v_add_co_u32_e64 v38, s[0:1], v40, v25
	v_mov_b32_e32 v2, v31
	v_addc_co_u32_e64 v39, s[0:1], v41, v26, s[0:1]
	v_mad_u64_u32 v[25:26], s[0:1], s21, v8, v[2:3]
	global_load_dword v26, v[0:1], off
	global_load_dword v27, v[23:24], off
	;; [unrolled: 1-line block ×8, first 2 shown]
	v_mov_b32_e32 v8, v9
	v_mov_b32_e32 v31, v25
	v_lshlrev_b64 v[0:1], 2, v[30:31]
	v_add_co_u32_e64 v0, s[0:1], v40, v0
	v_addc_co_u32_e64 v1, s[0:1], v41, v1, s[0:1]
	global_load_dword v66, v[0:1], off
	v_add_co_u32_e64 v0, s[0:1], v40, v12
	v_addc_co_u32_e64 v1, s[0:1], v41, v13, s[0:1]
	global_load_dword v15, v[0:1], off
	s_waitcnt vmcnt(9)
	v_lshrrev_b32_e32 v46, 16, v26
	s_waitcnt vmcnt(8)
	v_lshrrev_b32_e32 v48, 16, v27
	;; [unrolled: 2-line block ×9, first 2 shown]
.LBB0_13:
	s_or_b64 exec, exec, s[6:7]
	v_add_f16_e32 v0, v22, v66
	s_mov_b32 s14, 0x39e93b76
	v_sub_f16_e32 v1, v62, v68
	v_add_f16_e32 v2, v21, v59
	v_pk_mul_f16 v13, v0, s14 op_sel_hi:[0,1]
	s_mov_b32 s0, 0xb964b5c8
	s_mov_b32 s9, 0x2de839e9
	v_sub_f16_e32 v12, v60, v67
	v_pk_fma_f16 v14, v1, s0, v13 op_sel_hi:[0,1,1] neg_lo:[1,0,0] neg_hi:[1,0,0]
	v_pk_mul_f16 v23, v2, s9 op_sel_hi:[0,1]
	s_mov_b32 s1, 0xbbf7b964
	s_waitcnt vmcnt(0)
	v_pk_add_f16 v14, v14, v15 op_sel_hi:[1,0]
	v_pk_fma_f16 v16, v12, s1, v23 op_sel_hi:[0,1,1] neg_lo:[1,0,0] neg_hi:[1,0,0]
	v_pk_add_f16 v14, v16, v14
	v_add_f16_e32 v16, v20, v55
	s_mov_b32 s8, 0xb8d23722
	s_mov_b32 s6, 0xba62bb29
	v_sub_f16_e32 v24, v58, v65
	v_pk_mul_f16 v25, v16, s8 op_sel_hi:[0,1]
	s_mov_b32 s15, 0xbbdd2de8
	v_add_f16_e32 v31, v19, v56
	v_pk_fma_f16 v28, v24, s6, v25 op_sel_hi:[0,1,1] neg_lo:[1,0,0] neg_hi:[1,0,0]
	s_mov_b32 s7, 0xb1e1bbf7
	v_sub_f16_e32 v32, v54, v64
	v_pk_mul_f16 v33, v31, s15 op_sel_hi:[0,1]
	s_mov_b32 s16, 0xbacdb461
	v_add_f16_e32 v34, v18, v52
	v_pk_add_f16 v14, v28, v14
	v_pk_fma_f16 v28, v32, s7, v33 op_sel_hi:[0,1,1] neg_lo:[1,0,0] neg_hi:[1,0,0]
	s_mov_b32 s20, 0x3836bbb2
	v_sub_f16_e32 v35, v51, v63
	v_pk_mul_f16 v36, v34, s16 op_sel_hi:[0,1]
	s_mov_b32 s18, 0xb461b8d2
	v_add_f16_e32 v37, v17, v45
	v_pk_add_f16 v14, v28, v14
	;; [unrolled: 7-line block ×3, first 2 shown]
	v_pk_fma_f16 v28, v38, s21, v39 op_sel_hi:[0,1,1] neg_lo:[1,0,0] neg_hi:[1,0,0]
	s_mov_b32 s22, 0x3b29b836
	v_sub_f16_e32 v41, v49, v57
	v_pk_mul_f16 v42, v40, s17 op_sel_hi:[0,1]
	s_mov_b32 s19, 0x2de83722
	v_pk_add_f16 v14, v28, v14
	v_pk_fma_f16 v28, v41, s22, v42 op_sel_hi:[0,1,1] neg_lo:[1,0,0] neg_hi:[1,0,0]
	s_mov_b32 s23, 0xbbf7bb29
	v_pk_mul_f16 v43, v0, s19 op_sel_hi:[0,1]
	s_mov_b32 s19, 0xbbddb8d2
	v_pk_add_f16 v14, v28, v14
	v_pk_fma_f16 v28, v1, s23, v43 op_sel_hi:[0,1,1] neg_lo:[1,0,0] neg_hi:[1,0,0]
	s_mov_b32 s24, 0xb1e1ba62
	v_pk_mul_f16 v44, v2, s19 op_sel_hi:[0,1]
	s_mov_b32 s19, 0xb461bbdd
	v_pk_add_f16 v28, v28, v15 op_sel_hi:[1,0]
	v_pk_fma_f16 v29, v12, s24, v44 op_sel_hi:[0,1,1] neg_lo:[1,0,0] neg_hi:[1,0,0]
	s_mov_b32 s25, 0x3bb231e1
	v_pk_mul_f16 v69, v16, s19 op_sel_hi:[0,1]
	s_mov_b32 s19, 0x3b76b461
	v_pk_add_f16 v28, v29, v28
	v_pk_fma_f16 v29, v24, s25, v69 op_sel_hi:[0,1,1] neg_lo:[1,0,0] neg_hi:[1,0,0]
	s_mov_b32 s26, 0x35c83bb2
	v_pk_mul_f16 v70, v31, s19 op_sel_hi:[0,1]
	s_mov_b32 s19, 0x372239e9
	v_pk_add_f16 v28, v29, v28
	;; [unrolled: 5-line block ×4, first 2 shown]
	v_pk_fma_f16 v29, v38, s28, v72 op_sel_hi:[0,1,1] neg_lo:[1,0,0] neg_hi:[1,0,0]
	s_mov_b32 s29, 0x3a62bbf7
	v_pk_mul_f16 v73, v40, s19 op_sel_hi:[0,1]
	s_mov_b32 s19, 0x3b76bbdd
	v_add_f16_e32 v61, v26, v27
	v_pk_add_f16 v28, v29, v28
	v_pk_fma_f16 v29, v41, s29, v73 op_sel_hi:[0,1,1] neg_lo:[1,0,0] neg_hi:[1,0,0]
	s_mov_b32 s30, 0x35c8b1e1
	s_mov_b32 s31, 0x39e9bacd
	v_sub_f16_e32 v74, v46, v48
	v_pk_mul_f16 v75, v61, s19 op_sel_hi:[0,1]
	v_pk_add_f16 v29, v29, v28
	s_mov_b32 s33, 0x3964b836
	v_pk_fma_f16 v28, v74, s30, v75 op_sel_hi:[0,1,1] neg_lo:[1,0,0] neg_hi:[1,0,0]
	v_pk_mul_f16 v76, v61, s31 op_sel_hi:[0,1]
	s_mov_b32 s31, 0xb8d2b461
	v_pk_fma_f16 v30, v74, s33, v76 op_sel_hi:[0,1,1] neg_lo:[1,0,0] neg_hi:[1,0,0]
	v_pk_add_f16 v28, v28, v14
	s_mov_b32 s34, 0xba62bbb2
	v_pk_mul_f16 v14, v0, s31 op_sel_hi:[0,1]
	s_mov_b32 s31, 0xb461bacd
	v_pk_add_f16 v29, v30, v29
	v_pk_fma_f16 v30, v1, s34, v14 op_sel_hi:[0,1,1] neg_lo:[1,0,0] neg_hi:[1,0,0]
	s_mov_b32 s35, 0x3bb23836
	v_pk_mul_f16 v77, v2, s31 op_sel_hi:[0,1]
	v_pk_add_f16 v30, v30, v15 op_sel_hi:[1,0]
	v_pk_fma_f16 v78, v12, s35, v77 op_sel_hi:[0,1,1] neg_lo:[1,0,0] neg_hi:[1,0,0]
	s_mov_b32 s31, 0x3b7639e9
	v_pk_add_f16 v30, v78, v30
	s_mov_b32 s36, 0xb5c83964
	v_pk_mul_f16 v78, v16, s31 op_sel_hi:[0,1]
	v_pk_fma_f16 v79, v24, s36, v78 op_sel_hi:[0,1,1] neg_lo:[1,0,0] neg_hi:[1,0,0]
	s_mov_b32 s31, 0xbacd3722
	v_pk_add_f16 v30, v79, v30
	s_mov_b32 s37, 0xb836bb29
	v_pk_mul_f16 v79, v31, s31 op_sel_hi:[0,1]
	;; [unrolled: 5-line block ×6, first 2 shown]
	s_mov_b32 s31, 0xbbddbacd
	v_pk_fma_f16 v84, v74, s41, v83 op_sel_hi:[0,1,1] neg_lo:[1,0,0] neg_hi:[1,0,0]
	v_pk_mul_f16 v0, v0, s31 op_sel_hi:[0,1]
	s_mov_b32 s31, 0xb1e1b836
	s_mov_b32 s42, 0x3b763722
	v_pk_add_f16 v30, v84, v30
	v_pk_fma_f16 v84, v1, s31, v0 op_sel_hi:[0,1,1] neg_lo:[1,0,0] neg_hi:[1,0,0]
	v_pk_mul_f16 v2, v2, s42 op_sel_hi:[0,1]
	s_mov_b32 s42, 0x35c83b29
	s_mov_b32 s43, 0xbacd2de8
	v_pk_add_f16 v84, v84, v15 op_sel_hi:[1,0]
	v_pk_fma_f16 v85, v12, s42, v2 op_sel_hi:[0,1,1] neg_lo:[1,0,0] neg_hi:[1,0,0]
	v_pk_mul_f16 v16, v16, s43 op_sel_hi:[0,1]
	s_mov_b32 s43, 0xb836bbf7
	v_pk_add_f16 v84, v85, v84
	v_pk_fma_f16 v85, v24, s43, v16 op_sel_hi:[0,1,1] neg_lo:[1,0,0] neg_hi:[1,0,0]
	s_mov_b32 s44, 0x39e9b8d2
	v_pk_add_f16 v84, v85, v84
	v_pk_mul_f16 v85, v31, s44 op_sel_hi:[0,1]
	s_mov_b32 s44, 0x39643a62
	s_mov_b32 s45, 0xb8d23b76
	v_pk_fma_f16 v31, v32, s44, v85 op_sel_hi:[0,1,1] neg_lo:[1,0,0] neg_hi:[1,0,0]
	v_pk_mul_f16 v34, v34, s45 op_sel_hi:[0,1]
	s_mov_b32 s45, 0xba62b5c8
	s_mov_b32 s46, 0x3722bbdd
	v_pk_add_f16 v31, v31, v84
	v_pk_fma_f16 v84, v35, s45, v34 op_sel_hi:[0,1,1] neg_lo:[1,0,0] neg_hi:[1,0,0]
	v_pk_mul_f16 v37, v37, s46 op_sel_hi:[0,1]
	s_mov_b32 s46, 0x3b29b1e1
	s_mov_b32 s47, 0xb46139e9
	v_pk_add_f16 v31, v84, v31
	v_pk_fma_f16 v84, v38, s46, v37 op_sel_hi:[0,1,1] neg_lo:[1,0,0] neg_hi:[1,0,0]
	v_pk_mul_f16 v40, v40, s47 op_sel_hi:[0,1]
	s_mov_b32 s47, 0xbbb23964
	v_pk_add_f16 v31, v84, v31
	v_pk_fma_f16 v84, v41, s47, v40 op_sel_hi:[0,1,1] neg_lo:[1,0,0] neg_hi:[1,0,0]
	s_mov_b32 s48, 0x2de8b461
	v_pk_add_f16 v31, v84, v31
	v_pk_mul_f16 v84, v61, s48 op_sel_hi:[0,1]
	s_mov_b32 s48, 0x3bf7bbb2
	v_pk_fma_f16 v61, v74, s48, v84 op_sel_hi:[0,1,1] neg_lo:[1,0,0] neg_hi:[1,0,0]
	v_pk_add_f16 v31, v61, v31
	v_mad_u32_u24 v61, v9, 34, 0
	ds_write_b128 v61, v[28:31] offset:2
	v_add_f16_e32 v28, v22, v15
	v_pk_fma_f16 v0, v1, s31, v0 op_sel_hi:[0,1,1]
	v_add_f16_e32 v28, v21, v28
	v_pk_add_f16 v0, v0, v15 op_sel_hi:[1,0]
	v_pk_fma_f16 v2, v12, s42, v2 op_sel_hi:[0,1,1]
	v_add_f16_e32 v28, v20, v28
	v_pk_add_f16 v0, v2, v0
	v_pk_fma_f16 v2, v24, s43, v16 op_sel_hi:[0,1,1]
	v_add_f16_e32 v28, v19, v28
	v_pk_add_f16 v0, v2, v0
	v_pk_fma_f16 v2, v32, s44, v85 op_sel_hi:[0,1,1]
	v_add_f16_e32 v28, v18, v28
	v_pk_add_f16 v0, v2, v0
	v_pk_fma_f16 v2, v35, s45, v34 op_sel_hi:[0,1,1]
	v_add_f16_e32 v28, v17, v28
	v_pk_add_f16 v0, v2, v0
	v_pk_fma_f16 v2, v38, s46, v37 op_sel_hi:[0,1,1]
	v_add_f16_e32 v28, v3, v28
	v_pk_add_f16 v0, v2, v0
	v_pk_fma_f16 v2, v41, s47, v40 op_sel_hi:[0,1,1]
	v_add_f16_e32 v28, v26, v28
	v_pk_add_f16 v0, v2, v0
	v_pk_fma_f16 v2, v74, s48, v84 op_sel_hi:[0,1,1]
	v_add_f16_e32 v28, v27, v28
	v_pk_add_f16 v0, v2, v0
	v_pk_fma_f16 v2, v1, s34, v14 op_sel_hi:[0,1,1]
	v_add_f16_e32 v28, v47, v28
	v_pk_add_f16 v2, v2, v15 op_sel_hi:[1,0]
	v_pk_fma_f16 v14, v12, s35, v77 op_sel_hi:[0,1,1]
	v_add_f16_e32 v28, v45, v28
	v_pk_add_f16 v2, v14, v2
	v_pk_fma_f16 v14, v24, s36, v78 op_sel_hi:[0,1,1]
	v_add_f16_e32 v28, v52, v28
	v_pk_add_f16 v2, v14, v2
	;; [unrolled: 3-line block ×6, first 2 shown]
	v_pk_fma_f16 v14, v74, s41, v83 op_sel_hi:[0,1,1]
	ds_write_b16 v61, v28
	v_pk_add_f16 v2, v14, v2
	v_alignbit_b32 v28, v0, v0, 16
	v_pk_fma_f16 v0, v1, s23, v43 op_sel_hi:[0,1,1]
	v_alignbit_b32 v29, v2, v2, 16
	v_pk_add_f16 v0, v0, v15 op_sel_hi:[1,0]
	v_pk_fma_f16 v2, v12, s24, v44 op_sel_hi:[0,1,1]
	v_pk_add_f16 v0, v2, v0
	v_pk_fma_f16 v2, v24, s25, v69 op_sel_hi:[0,1,1]
	v_pk_add_f16 v0, v2, v0
	;; [unrolled: 2-line block ×7, first 2 shown]
	v_pk_fma_f16 v0, v1, s0, v13 op_sel_hi:[0,1,1]
	v_pk_fma_f16 v1, v12, s1, v23 op_sel_hi:[0,1,1]
	v_pk_add_f16 v0, v0, v15 op_sel_hi:[1,0]
	v_pk_add_f16 v0, v1, v0
	v_pk_fma_f16 v1, v24, s6, v25 op_sel_hi:[0,1,1]
	v_pk_add_f16 v0, v1, v0
	v_pk_fma_f16 v1, v32, s7, v33 op_sel_hi:[0,1,1]
	;; [unrolled: 2-line block ×6, first 2 shown]
	v_pk_add_f16 v25, v1, v0
	v_lshlrev_b32_e32 v0, 5, v9
	v_alignbit_b32 v30, v16, v16, 16
	v_alignbit_b32 v31, v25, v25, 16
	v_sub_u32_e32 v12, v61, v0
	s_load_dwordx2 s[4:5], s[4:5], 0x0
	ds_write_b128 v61, v[28:31] offset:18
	s_waitcnt lgkmcnt(0)
	s_barrier
	ds_read_u16 v24, v12
	ds_read_u16 v28, v12 offset:578
	v_lshl_add_u32 v13, v11, 1, 0
	ds_read_u16 v39, v12 offset:2312
	ds_read_u16 v29, v12 offset:1972
	;; [unrolled: 1-line block ×6, first 2 shown]
	ds_read_u16 v23, v13
	ds_read_u16 v30, v12 offset:3706
	ds_read_u16 v42, v12 offset:3468
	;; [unrolled: 1-line block ×5, first 2 shown]
	v_cmp_gt_u32_e64 s[0:1], 51, v9
	v_lshrrev_b32_e32 v34, 16, v25
	v_lshl_add_u32 v14, v10, 1, 0
                                        ; implicit-def: $vgpr36
                                        ; implicit-def: $vgpr31
                                        ; implicit-def: $vgpr35
                                        ; implicit-def: $vgpr40
	s_and_saveexec_b64 s[6:7], s[0:1]
	s_cbranch_execz .LBB0_15
; %bb.14:
	ds_read_u16 v34, v12 offset:1054
	ds_read_u16 v25, v12 offset:1632
	;; [unrolled: 1-line block ×5, first 2 shown]
	ds_read_u16 v16, v14
	ds_read_u16 v31, v12 offset:3944
.LBB0_15:
	s_or_b64 exec, exec, s[6:7]
	v_add_f16_sdwa v0, v62, v15 dst_sel:DWORD dst_unused:UNUSED_PAD src0_sel:DWORD src1_sel:WORD_1
	v_add_f16_e32 v0, v60, v0
	v_add_f16_e32 v0, v58, v0
	;; [unrolled: 1-line block ×11, first 2 shown]
	v_sub_f16_e32 v2, v22, v66
	v_add_f16_e32 v0, v64, v0
	v_add_f16_e32 v1, v62, v68
	s_mov_b32 s21, 0xbbdd
	v_mul_f16_e32 v69, 0xb1e1, v2
	v_sub_f16_e32 v21, v21, v59
	v_add_f16_e32 v0, v65, v0
	s_movk_i32 s20, 0x3b76
	v_mul_f16_e32 v62, 0xb5c8, v2
	v_fma_f16 v70, v1, s21, v69
	v_add_f16_e32 v60, v60, v67
	v_mul_f16_e32 v72, 0x35c8, v21
	v_sub_f16_e32 v55, v20, v55
	v_add_f16_e32 v0, v67, v0
	v_fma_f16 v66, v1, s20, -v62
	v_add_f16_sdwa v70, v70, v15 dst_sel:DWORD dst_unused:UNUSED_PAD src0_sel:DWORD src1_sel:WORD_1
	s_movk_i32 s7, 0x39e9
	v_mul_f16_e32 v67, 0xb964, v21
	v_fma_f16 v73, v60, s20, v72
	v_add_f16_e32 v58, v58, v65
	s_mov_b32 s23, 0xbacd
	v_mul_f16_e32 v74, 0xb836, v55
	v_sub_f16_e32 v19, v19, v56
	v_add_f16_sdwa v66, v66, v15 dst_sel:DWORD dst_unused:UNUSED_PAD src0_sel:DWORD src1_sel:WORD_1
	v_fma_f16 v71, v60, s7, -v67
	v_add_f16_e32 v70, v73, v70
	s_movk_i32 s22, 0x3722
	v_mul_f16_e32 v65, 0xbb29, v55
	v_fma_f16 v75, v58, s23, v74
	v_add_f16_e32 v54, v54, v64
	v_mul_f16_e32 v76, 0x3964, v19
	v_sub_f16_e32 v18, v18, v52
	v_add_f16_e32 v66, v71, v66
	v_fma_f16 v73, v58, s22, -v65
	v_add_f16_e32 v70, v75, v70
	s_movk_i32 s6, 0x2de8
	v_mul_f16_e32 v64, 0xbbf7, v19
	v_fma_f16 v77, v54, s7, v76
	v_add_f16_e32 v51, v51, v63
	s_mov_b32 s25, 0xb8d2
	v_mul_f16_e32 v78, 0xba62, v18
	v_add_f16_e32 v66, v73, v66
	v_fma_f16 v75, v54, s6, -v64
	v_add_f16_e32 v70, v77, v70
	s_mov_b32 s24, 0xb461
	v_mul_f16_e32 v63, 0xbbb2, v18
	v_fma_f16 v79, v51, s25, v78
	v_sub_f16_e32 v45, v17, v45
	v_add_f16_e32 v66, v75, v66
	v_fma_f16 v77, v51, s24, -v63
	v_add_f16_e32 v70, v79, v70
	v_add_f16_e32 v50, v50, v53
	v_mul_f16_e32 v79, 0xba62, v45
	v_mul_f16_e32 v80, 0x3b29, v45
	v_sub_f16_e32 v47, v3, v47
	v_add_f16_e32 v66, v77, v66
	v_fma_f16 v17, v50, s25, -v79
	v_fma_f16 v81, v50, s22, v80
	v_add_f16_e32 v49, v49, v57
	v_mul_f16_e32 v57, 0xb836, v47
	v_mul_f16_e32 v82, 0xbbb2, v47
	v_sub_f16_e32 v26, v26, v27
	v_add_f16_e32 v17, v17, v66
	v_add_f16_e32 v70, v81, v70
	v_fma_f16 v81, v49, s23, -v57
	v_fma_f16 v83, v49, s24, v82
	v_add_f16_e32 v46, v46, v48
	v_mul_f16_e32 v48, 0xb1e1, v26
	s_mov_b32 s26, 0xb964bb29
	v_add_f16_e32 v17, v81, v17
	v_add_f16_e32 v70, v83, v70
	v_fma_f16 v83, v46, s21, -v48
	s_mov_b32 s7, 0x39e93722
	v_pk_mul_f16 v84, v2, s26 op_sel_hi:[0,1]
	v_add_f16_e32 v17, v83, v17
	v_pk_mul_f16 v83, v1, s7 op_sel_hi:[0,1]
	v_pk_fma_f16 v86, v1, s7, v84 op_sel_hi:[0,1,1] neg_lo:[0,0,1] neg_hi:[0,0,1]
	s_mov_b32 s7, 0x2de8b8d2
	s_mov_b32 s26, 0xbbf7ba62
	v_add_f16_e32 v85, v83, v84
	v_pk_mul_f16 v87, v60, s7 op_sel_hi:[0,1]
	v_pk_mul_f16 v88, v21, s26 op_sel_hi:[0,1]
	v_add_f16_sdwa v85, v85, v15 dst_sel:DWORD dst_unused:UNUSED_PAD src0_sel:DWORD src1_sel:WORD_1
	v_add_f16_e32 v89, v87, v88
	v_pk_add_f16 v86, v86, v15 op_sel:[0,1]
	v_add_f16_e32 v85, v89, v85
	v_pk_fma_f16 v89, v60, s7, v88 op_sel_hi:[0,1,1] neg_lo:[0,0,1] neg_hi:[0,0,1]
	s_mov_b32 s7, 0xb8d2bbdd
	s_mov_b32 s26, 0xba6231e1
	v_pk_add_f16 v86, v89, v86
	v_pk_mul_f16 v89, v58, s7 op_sel_hi:[0,1]
	v_pk_mul_f16 v90, v55, s26 op_sel_hi:[0,1]
	v_add_f16_e32 v91, v89, v90
	v_add_f16_e32 v85, v91, v85
	v_pk_fma_f16 v91, v58, s7, v90 op_sel_hi:[0,1,1] neg_lo:[0,0,1] neg_hi:[0,0,1]
	s_mov_b32 s7, 0xbbddb461
	s_mov_b32 s26, 0xb1e13bb2
	v_pk_add_f16 v86, v91, v86
	v_pk_mul_f16 v91, v54, s7 op_sel_hi:[0,1]
	v_pk_mul_f16 v92, v19, s26 op_sel_hi:[0,1]
	v_add_f16_e32 v93, v91, v92
	;; [unrolled: 8-line block ×5, first 2 shown]
	v_add_f16_e32 v85, v99, v85
	v_pk_fma_f16 v99, v49, s7, v98 op_sel_hi:[0,1,1] neg_lo:[0,0,1] neg_hi:[0,0,1]
	s_mov_b32 s7, 0x35c8b836
	v_mul_f16_e32 v22, 0x3b76, v1
	v_pk_mul_f16 v100, v26, s7 op_sel_hi:[0,1]
	s_mov_b32 s7, 0xffff
	v_mul_f16_e32 v59, 0x39e9, v60
	v_bfi_b32 v22, s7, v22, v83
	v_bfi_b32 v62, s7, v62, v84
	v_pk_add_f16 v22, v22, v62
	v_bfi_b32 v59, s7, v59, v87
	v_bfi_b32 v62, s7, v67, v88
	v_mul_f16_e32 v20, 0x3722, v58
	v_pk_add_f16 v22, v22, v15 op_sel:[0,1]
	v_pk_add_f16 v59, v59, v62
	v_pk_add_f16 v22, v59, v22
	v_bfi_b32 v20, s7, v20, v89
	v_bfi_b32 v59, s7, v65, v90
	v_mul_f16_e32 v56, 0x2de8, v54
	v_pk_add_f16 v20, v20, v59
	v_pk_add_f16 v20, v20, v22
	v_bfi_b32 v22, s7, v56, v91
	v_bfi_b32 v56, s7, v64, v92
	v_mul_f16_e32 v52, 0xb461, v51
	;; [unrolled: 5-line block ×4, first 2 shown]
	v_pk_add_f16 v22, v22, v52
	s_mov_b32 s26, 0x3b76bacd
	v_pk_add_f16 v20, v22, v20
	v_bfi_b32 v3, s7, v3, v97
	v_bfi_b32 v22, s7, v57, v98
	v_mul_f16_e32 v27, 0xbbdd, v46
	v_pk_add_f16 v86, v99, v86
	v_pk_mul_f16 v99, v46, s26 op_sel_hi:[0,1]
	v_pk_add_f16 v3, v3, v22
	v_pk_add_f16 v3, v3, v20
	v_bfi_b32 v20, s7, v27, v99
	v_bfi_b32 v22, s7, v48, v100
	v_pk_add_f16 v20, v20, v22
	v_pk_add_f16 v22, v20, v3
	v_add_f16_e32 v20, v99, v100
	s_mov_b32 s27, 0xbbb2bbf7
	v_pk_fma_f16 v3, v46, s26, v100 op_sel_hi:[0,1,1] neg_lo:[0,0,1] neg_hi:[0,0,1]
	v_add_f16_e32 v27, v20, v85
	s_mov_b32 s26, 0xb4612de8
	v_pk_mul_f16 v20, v2, s27 op_sel_hi:[0,1]
	s_mov_b32 s27, 0x3836b1e1
	v_fma_f16 v48, v1, s6, -v20
	v_pk_fma_f16 v20, v1, s26, v20 op_sel_hi:[0,1,1]
	s_mov_b32 s26, 0xbacdbbdd
	v_pk_mul_f16 v52, v21, s27 op_sel_hi:[0,1]
	v_pk_add_f16 v20, v20, v15 op_sel:[0,1]
	v_fma_f16 v53, v60, s21, -v52
	v_pk_fma_f16 v52, v60, s26, v52 op_sel_hi:[0,1,1]
	s_mov_b32 s26, 0x39643bb2
	v_add_f16_sdwa v48, v48, v15 dst_sel:DWORD dst_unused:UNUSED_PAD src0_sel:DWORD src1_sel:WORD_1
	v_pk_add_f16 v20, v52, v20
	s_mov_b32 s21, 0x39e9b461
	v_pk_mul_f16 v52, v55, s26 op_sel_hi:[0,1]
	v_add_f16_e32 v48, v53, v48
	v_fma_f16 v53, v58, s24, -v52
	v_pk_fma_f16 v52, v58, s21, v52 op_sel_hi:[0,1,1]
	s_mov_b32 s24, 0xbb2935c8
	v_pk_add_f16 v20, v52, v20
	s_mov_b32 s21, 0x37223b76
	v_pk_mul_f16 v52, v19, s24 op_sel_hi:[0,1]
	v_add_f16_e32 v48, v53, v48
	v_fma_f16 v53, v54, s20, -v52
	v_pk_fma_f16 v52, v54, s21, v52 op_sel_hi:[0,1,1]
	s_mov_b32 s21, 0xb1e1bb29
	;; [unrolled: 7-line block ×5, first 2 shown]
	s_mov_b32 s21, 0xba623964
	v_add_f16_e32 v48, v53, v48
	v_pk_add_f16 v20, v52, v20
	v_pk_mul_f16 v52, v46, s20 op_sel_hi:[0,1]
	v_pk_mul_f16 v53, v26, s21 op_sel_hi:[0,1]
	s_mov_b32 s21, 0xb836ba62
	v_pk_fma_f16 v56, v46, s20, v53 op_sel_hi:[0,1,1]
	v_sub_f16_e32 v52, v52, v53
	s_mov_b32 s20, 0xbacdb8d2
	v_pk_mul_f16 v53, v2, s21 op_sel_hi:[0,1]
	s_mov_b32 s21, 0x3b293bb2
	v_add_f16_e32 v48, v52, v48
	v_pk_add_f16 v20, v56, v20
	v_pk_mul_f16 v52, v1, s20 op_sel_hi:[0,1]
	v_pk_fma_f16 v56, v1, s20, v53 op_sel_hi:[0,1,1]
	s_mov_b32 s20, 0x3722b461
	v_pk_mul_f16 v59, v21, s21 op_sel_hi:[0,1]
	s_mov_b32 s21, 0xbbf7b5c8
	v_pk_add_f16 v56, v56, v15 op_sel:[0,1]
	v_pk_mul_f16 v57, v60, s20 op_sel_hi:[0,1]
	v_pk_fma_f16 v62, v60, s20, v59 op_sel_hi:[0,1,1]
	s_mov_b32 s20, 0x2de83b76
	v_pk_mul_f16 v63, v55, s21 op_sel_hi:[0,1]
	s_mov_b32 s21, 0x3a62b836
	v_pk_add_f16 v56, v62, v56
	v_pk_mul_f16 v62, v58, s20 op_sel_hi:[0,1]
	v_pk_fma_f16 v64, v58, s20, v63 op_sel_hi:[0,1,1]
	s_mov_b32 s20, 0xb8d2bacd
	v_pk_mul_f16 v65, v19, s21 op_sel_hi:[0,1]
	s_mov_b32 s21, 0xb5c83bf7
	v_pk_add_f16 v56, v64, v56
	;; [unrolled: 6-line block ×4, first 2 shown]
	v_pk_add_f16 v56, v83, v56
	v_pk_mul_f16 v83, v50, s20 op_sel_hi:[0,1]
	v_pk_fma_f16 v85, v50, s20, v84 op_sel_hi:[0,1,1]
	s_mov_b32 s20, 0x39e9bbdd
	v_pk_mul_f16 v86, v47, s21 op_sel_hi:[0,1]
	s_mov_b32 s21, 0xbbb23b29
	v_pk_add_f16 v56, v85, v56
	v_pk_mul_f16 v85, v49, s20 op_sel_hi:[0,1]
	v_pk_fma_f16 v87, v49, s20, v86 op_sel_hi:[0,1,1]
	s_mov_b32 s20, 0xb4613722
	v_pk_mul_f16 v88, v26, s21 op_sel_hi:[0,1]
	v_pk_add_f16 v56, v87, v56
	v_pk_mul_f16 v87, v46, s20 op_sel_hi:[0,1]
	v_pk_fma_f16 v89, v46, s20, v88 op_sel_hi:[0,1,1]
	s_mov_b32 s20, 0x3bb23a62
	v_pk_mul_f16 v2, v2, s20 op_sel_hi:[0,1]
	v_add_f16_e32 v0, v68, v0
	v_mul_f16_e32 v68, 0xbbdd, v1
	v_pk_fma_f16 v1, v1, s18, v2 op_sel_hi:[0,1,1]
	s_mov_b32 s18, 0xb836bbb2
	v_pk_mul_f16 v2, v21, s18 op_sel_hi:[0,1]
	v_pk_add_f16 v1, v1, v15 op_sel:[0,1]
	v_pk_fma_f16 v2, v60, s16, v2 op_sel_hi:[0,1,1]
	s_mov_b32 s16, 0xb96435c8
	v_pk_add_f16 v1, v2, v1
	v_pk_mul_f16 v2, v55, s16 op_sel_hi:[0,1]
	v_pk_fma_f16 v2, v58, s14, v2 op_sel_hi:[0,1,1]
	s_mov_b32 s14, 0x3b293836
	v_pk_add_f16 v1, v2, v1
	v_pk_mul_f16 v2, v19, s14 op_sel_hi:[0,1]
	;; [unrolled: 4-line block ×5, first 2 shown]
	v_mul_f16_e32 v18, 0x3bf7, v26
	v_pk_fma_f16 v2, v49, s19, v2 op_sel_hi:[0,1,1]
	s_mov_b32 s9, 0x3a62bb29
	v_fma_f16 v19, v46, s6, v18
	v_pk_add_f16 v1, v2, v1
	v_pk_mul_f16 v2, v26, s9 op_sel_hi:[0,1]
	v_add_f16_e32 v26, v19, v70
	v_bfi_b32 v19, s7, v68, v52
	v_bfi_b32 v45, s7, v69, v53
	v_mul_f16_e32 v71, 0x3b76, v60
	v_pk_add_f16 v19, v19, v45 neg_lo:[0,1] neg_hi:[0,1]
	v_pk_add_f16 v15, v19, v15 op_sel:[0,1]
	v_bfi_b32 v19, s7, v71, v57
	v_bfi_b32 v45, s7, v72, v59
	v_mul_f16_e32 v73, 0xbacd, v58
	v_pk_add_f16 v19, v19, v45 neg_lo:[0,1] neg_hi:[0,1]
	v_pk_add_f16 v15, v19, v15
	v_bfi_b32 v19, s7, v73, v62
	v_bfi_b32 v45, s7, v74, v63
	v_mul_f16_e32 v75, 0x39e9, v54
	v_pk_add_f16 v19, v19, v45 neg_lo:[0,1] neg_hi:[0,1]
	v_pk_add_f16 v15, v19, v15
	v_bfi_b32 v19, s7, v75, v64
	v_bfi_b32 v45, s7, v76, v65
	v_mul_f16_e32 v77, 0xb8d2, v51
	v_pk_add_f16 v19, v19, v45 neg_lo:[0,1] neg_hi:[0,1]
	v_pk_add_f16 v15, v19, v15
	v_bfi_b32 v19, s7, v77, v67
	v_bfi_b32 v45, s7, v78, v79
	v_mul_f16_e32 v66, 0x3722, v50
	v_pk_add_f16 v19, v19, v45 neg_lo:[0,1] neg_hi:[0,1]
	v_pk_add_f16 v15, v19, v15
	v_bfi_b32 v19, s7, v66, v83
	v_bfi_b32 v45, s7, v80, v84
	v_mul_f16_e32 v81, 0xb461, v49
	v_pk_fma_f16 v2, v46, s8, v2 op_sel_hi:[0,1,1]
	v_pk_add_f16 v19, v19, v45 neg_lo:[0,1] neg_hi:[0,1]
	v_pk_add_f16 v1, v2, v1
	v_mul_f16_e32 v2, 0x2de8, v46
	v_pk_add_f16 v15, v19, v15
	v_bfi_b32 v19, s7, v81, v85
	v_bfi_b32 v45, s7, v82, v86
	v_pk_add_f16 v19, v19, v45 neg_lo:[0,1] neg_hi:[0,1]
	v_bfi_b32 v2, s7, v2, v87
	v_bfi_b32 v18, s7, v18, v88
	v_pk_add_f16 v15, v19, v15
	v_pk_add_f16 v2, v2, v18 neg_lo:[0,1] neg_hi:[0,1]
	v_pk_add_f16 v15, v2, v15
	v_pk_add_f16 v21, v89, v56
	v_alignbit_b32 v19, v27, v22, 16
	v_pack_b32_f16 v18, v0, v22
	v_alignbit_b32 v2, v48, v1, 16
	v_alignbit_b32 v1, v1, v15, 16
	v_pack_b32_f16 v0, v26, v15
	s_waitcnt lgkmcnt(0)
	s_barrier
	ds_write_b128 v61, v[18:21]
	ds_write_b128 v61, v[0:3] offset:16
	ds_write_b16 v61, v17 offset:32
	s_waitcnt lgkmcnt(0)
	s_barrier
	ds_read_u16 v2, v12
	ds_read_u16 v19, v12 offset:578
	ds_read_u16 v15, v12 offset:2312
	;; [unrolled: 1-line block ×7, first 2 shown]
	ds_read_u16 v1, v13
	ds_read_u16 v22, v12 offset:3706
	ds_read_u16 v55, v12 offset:3468
	;; [unrolled: 1-line block ×5, first 2 shown]
                                        ; implicit-def: $vgpr58
                                        ; implicit-def: $vgpr56
                                        ; implicit-def: $vgpr57
                                        ; implicit-def: $vgpr59
	s_and_saveexec_b64 s[6:7], s[0:1]
	s_cbranch_execz .LBB0_17
; %bb.16:
	ds_read_u16 v0, v12 offset:1054
	ds_read_u16 v17, v12 offset:1632
	;; [unrolled: 1-line block ×5, first 2 shown]
	ds_read_u16 v3, v14
	ds_read_u16 v56, v12 offset:3944
	s_mov_b32 s8, 0x5040100
	s_waitcnt lgkmcnt(1)
	v_perm_b32 v3, v0, v3, s8
.LBB0_17:
	s_or_b64 exec, exec, s[6:7]
	s_movk_i32 s6, 0xf1
	v_mul_lo_u16_sdwa v0, v9, s6 dst_sel:DWORD dst_unused:UNUSED_PAD src0_sel:BYTE_0 src1_sel:DWORD
	v_mul_lo_u16_sdwa v46, v11, s6 dst_sel:DWORD dst_unused:UNUSED_PAD src0_sel:BYTE_0 src1_sel:DWORD
	v_lshrrev_b16_e32 v75, 12, v0
	v_lshrrev_b16_e32 v77, 12, v46
	v_mul_lo_u16_e32 v0, 17, v75
	v_mul_lo_u16_e32 v46, 17, v77
	v_sub_u16_e32 v76, v9, v0
	v_mov_b32_e32 v0, 6
	v_sub_u16_e32 v78, v11, v46
	v_mul_u32_u24_sdwa v45, v76, v0 dst_sel:DWORD dst_unused:UNUSED_PAD src0_sel:BYTE_0 src1_sel:DWORD
	v_mul_u32_u24_sdwa v0, v78, v0 dst_sel:DWORD dst_unused:UNUSED_PAD src0_sel:BYTE_0 src1_sel:DWORD
	s_mov_b32 s6, 0xf0f1
	v_lshlrev_b32_e32 v11, 2, v0
	v_mul_u32_u24_sdwa v0, v10, s6 dst_sel:DWORD dst_unused:UNUSED_PAD src0_sel:WORD_0 src1_sel:DWORD
	v_lshlrev_b32_e32 v45, 2, v45
	v_lshrrev_b32_e32 v0, 20, v0
	global_load_dwordx4 v[49:52], v45, s[12:13]
	global_load_dwordx2 v[69:70], v45, s[12:13] offset:16
	v_mul_lo_u16_e32 v45, 17, v0
	v_sub_u16_e32 v79, v10, v45
	v_mul_u32_u24_e32 v10, 6, v79
	global_load_dwordx4 v[61:64], v11, s[12:13]
	global_load_dwordx2 v[71:72], v11, s[12:13] offset:16
	v_lshlrev_b32_e32 v10, 2, v10
	global_load_dwordx4 v[65:68], v10, s[12:13]
	global_load_dwordx2 v[73:74], v10, s[12:13] offset:16
	v_lshrrev_b32_e32 v80, 16, v3
	s_movk_i32 s9, 0x2b26
	s_movk_i32 s8, 0x3b00
	s_mov_b32 s14, 0xbcab
	s_movk_i32 s15, 0x39e0
	s_mov_b32 s16, 0xb9e0
	;; [unrolled: 2-line block ×3, first 2 shown]
	s_movk_i32 s18, 0x370e
	s_waitcnt vmcnt(0) lgkmcnt(0)
	s_barrier
	v_mul_f16_sdwa v11, v28, v49 dst_sel:DWORD dst_unused:UNUSED_PAD src0_sel:DWORD src1_sel:WORD_1
	v_mul_f16_sdwa v10, v19, v49 dst_sel:DWORD dst_unused:UNUSED_PAD src0_sel:DWORD src1_sel:WORD_1
	v_fma_f16 v48, v19, v49, v11
	v_mul_f16_sdwa v46, v47, v50 dst_sel:DWORD dst_unused:UNUSED_PAD src0_sel:DWORD src1_sel:WORD_1
	v_mul_f16_sdwa v54, v43, v50 dst_sel:DWORD dst_unused:UNUSED_PAD src0_sel:DWORD src1_sel:WORD_1
	v_mul_f16_sdwa v90, v37, v61 dst_sel:DWORD dst_unused:UNUSED_PAD src0_sel:DWORD src1_sel:WORD_1
	v_mul_f16_sdwa v92, v32, v62 dst_sel:DWORD dst_unused:UNUSED_PAD src0_sel:DWORD src1_sel:WORD_1
	v_mul_f16_sdwa v93, v21, v63 dst_sel:DWORD dst_unused:UNUSED_PAD src0_sel:DWORD src1_sel:WORD_1
	v_mul_f16_sdwa v97, v27, v71 dst_sel:DWORD dst_unused:UNUSED_PAD src0_sel:DWORD src1_sel:WORD_1
	v_mul_f16_sdwa v104, v25, v66 dst_sel:DWORD dst_unused:UNUSED_PAD src0_sel:DWORD src1_sel:WORD_1
	v_mul_f16_sdwa v89, v20, v61 dst_sel:DWORD dst_unused:UNUSED_PAD src0_sel:DWORD src1_sel:WORD_1
	v_mul_f16_sdwa v91, v18, v62 dst_sel:DWORD dst_unused:UNUSED_PAD src0_sel:DWORD src1_sel:WORD_1
	v_mul_f16_sdwa v94, v29, v63 dst_sel:DWORD dst_unused:UNUSED_PAD src0_sel:DWORD src1_sel:WORD_1
	v_mul_f16_sdwa v98, v33, v71 dst_sel:DWORD dst_unused:UNUSED_PAD src0_sel:DWORD src1_sel:WORD_1
	v_mul_f16_sdwa v103, v17, v66 dst_sel:DWORD dst_unused:UNUSED_PAD src0_sel:DWORD src1_sel:WORD_1
	v_mul_f16_sdwa v107, v58, v68 dst_sel:DWORD dst_unused:UNUSED_PAD src0_sel:DWORD src1_sel:WORD_1
	v_fma_f16 v19, v20, v61, v90
	v_fma_f16 v20, v18, v62, v92
	v_fma_f16 v18, v29, v63, -v93
	v_fma_f16 v29, v33, v71, -v97
	v_fma_f16 v33, v17, v66, v104
	v_mul_f16_sdwa v17, v36, v68 dst_sel:DWORD dst_unused:UNUSED_PAD src0_sel:DWORD src1_sel:WORD_1
	v_mul_f16_sdwa v82, v41, v51 dst_sel:DWORD dst_unused:UNUSED_PAD src0_sel:DWORD src1_sel:WORD_1
	;; [unrolled: 1-line block ×3, first 2 shown]
	v_fma_f16 v11, v37, v61, -v89
	v_fma_f16 v37, v36, v68, -v107
	v_fma_f16 v36, v58, v68, v17
	v_mul_f16_sdwa v17, v57, v73 dst_sel:DWORD dst_unused:UNUSED_PAD src0_sel:DWORD src1_sel:WORD_1
	v_mul_f16_sdwa v81, v26, v51 dst_sel:DWORD dst_unused:UNUSED_PAD src0_sel:DWORD src1_sel:WORD_1
	;; [unrolled: 1-line block ×3, first 2 shown]
	v_fma_f16 v45, v28, v49, -v10
	v_fma_f16 v46, v43, v50, -v46
	v_fma_f16 v49, v47, v50, v54
	v_fma_f16 v50, v26, v51, v82
	v_fma_f16 v26, v38, v64, -v95
	v_fma_f16 v38, v35, v73, -v17
	v_mul_f16_sdwa v17, v35, v73 dst_sel:DWORD dst_unused:UNUSED_PAD src0_sel:DWORD src1_sel:WORD_1
	v_mul_f16_sdwa v83, v15, v52 dst_sel:DWORD dst_unused:UNUSED_PAD src0_sel:DWORD src1_sel:WORD_1
	;; [unrolled: 1-line block ×4, first 2 shown]
	v_fma_f16 v35, v57, v73, v17
	v_mul_f16_sdwa v17, v56, v74 dst_sel:DWORD dst_unused:UNUSED_PAD src0_sel:DWORD src1_sel:WORD_1
	v_mul_f16_sdwa v84, v39, v52 dst_sel:DWORD dst_unused:UNUSED_PAD src0_sel:DWORD src1_sel:WORD_1
	;; [unrolled: 1-line block ×5, first 2 shown]
	v_fma_f16 v47, v41, v51, -v81
	v_fma_f16 v51, v39, v52, -v83
	;; [unrolled: 1-line block ×5, first 2 shown]
	v_mul_f16_sdwa v17, v31, v74 dst_sel:DWORD dst_unused:UNUSED_PAD src0_sel:DWORD src1_sel:WORD_1
	v_mul_f16_sdwa v100, v30, v72 dst_sel:DWORD dst_unused:UNUSED_PAD src0_sel:DWORD src1_sel:WORD_1
	;; [unrolled: 1-line block ×3, first 2 shown]
	v_fma_f16 v52, v15, v52, v84
	v_fma_f16 v53, v53, v69, v86
	;; [unrolled: 1-line block ×3, first 2 shown]
	v_fma_f16 v15, v32, v62, -v91
	v_fma_f16 v32, v27, v71, v98
	v_fma_f16 v27, v40, v67, -v105
	v_fma_f16 v40, v56, v74, v17
	v_add_f16_e32 v17, v45, v54
	v_add_f16_e32 v31, v46, v44
	v_mul_f16_sdwa v99, v22, v72 dst_sel:DWORD dst_unused:UNUSED_PAD src0_sel:DWORD src1_sel:WORD_1
	v_mul_f16_sdwa v101, v80, v65 dst_sel:DWORD dst_unused:UNUSED_PAD src0_sel:DWORD src1_sel:WORD_1
	v_fma_f16 v43, v22, v72, v100
	v_fma_f16 v22, v25, v66, -v103
	v_sub_f16_e32 v25, v48, v55
	v_sub_f16_e32 v41, v49, v53
	v_add_f16_e32 v56, v47, v51
	v_sub_f16_e32 v57, v52, v50
	v_add_f16_e32 v58, v31, v17
	v_mul_f16_sdwa v102, v34, v65 dst_sel:DWORD dst_unused:UNUSED_PAD src0_sel:DWORD src1_sel:WORD_1
	v_fma_f16 v28, v60, v64, v96
	v_fma_f16 v10, v34, v65, -v101
	v_fma_f16 v34, v59, v67, v106
	v_sub_f16_e32 v59, v31, v17
	v_sub_f16_e32 v17, v17, v56
	;; [unrolled: 1-line block ×3, first 2 shown]
	v_add_f16_e32 v60, v57, v41
	v_sub_f16_e32 v61, v57, v41
	v_sub_f16_e32 v41, v41, v25
	v_add_f16_e32 v56, v56, v58
	v_sub_f16_e32 v57, v25, v57
	v_add_f16_e32 v25, v60, v25
	v_add_f16_e32 v24, v24, v56
	v_mul_f16_e32 v17, 0x3a52, v17
	v_mul_f16_e32 v58, 0x2b26, v31
	;; [unrolled: 1-line block ×4, first 2 shown]
	v_fma_f16 v56, v56, s14, v24
	v_fma_f16 v31, v31, s9, v17
	v_fma_f16 v58, v59, s15, -v58
	v_fma_f16 v17, v59, s16, -v17
	v_fma_f16 v59, v57, s17, v60
	v_fma_f16 v41, v41, s8, -v60
	v_fma_f16 v57, v57, s19, -v61
	;; [unrolled: 1-line block ×3, first 2 shown]
	v_add_f16_e32 v31, v31, v56
	v_add_f16_e32 v58, v58, v56
	;; [unrolled: 1-line block ×3, first 2 shown]
	v_fma_f16 v56, v25, s18, v59
	v_fma_f16 v41, v25, s18, v41
	;; [unrolled: 1-line block ×4, first 2 shown]
	v_add_f16_e32 v57, v56, v31
	v_add_f16_e32 v59, v25, v17
	v_sub_f16_e32 v60, v58, v41
	v_add_f16_e32 v41, v41, v58
	v_sub_f16_e32 v17, v17, v25
	v_sub_f16_e32 v25, v31, v56
	v_add_f16_e32 v31, v11, v42
	v_add_f16_e32 v58, v15, v29
	v_sub_f16_e32 v61, v20, v32
	v_add_f16_e32 v62, v18, v26
	v_sub_f16_e32 v63, v28, v21
	v_add_f16_e32 v64, v58, v31
	v_fma_f16 v30, v80, v65, v102
	v_sub_f16_e32 v56, v19, v43
	v_sub_f16_e32 v65, v58, v31
	v_sub_f16_e32 v31, v31, v62
	v_sub_f16_e32 v58, v62, v58
	v_add_f16_e32 v66, v63, v61
	v_sub_f16_e32 v67, v63, v61
	v_add_f16_e32 v62, v62, v64
	v_sub_f16_e32 v63, v56, v63
	v_sub_f16_e32 v61, v61, v56
	v_add_f16_e32 v56, v66, v56
	v_add_f16_e32 v23, v23, v62
	v_mul_f16_e32 v31, 0x3a52, v31
	v_mul_f16_e32 v64, 0x2b26, v58
	v_mul_f16_e32 v66, 0xb846, v67
	v_mul_f16_e32 v67, 0x3b00, v61
	v_fma_f16 v62, v62, s14, v23
	v_fma_f16 v58, v58, s9, v31
	v_fma_f16 v64, v65, s15, -v64
	v_fma_f16 v31, v65, s16, -v31
	v_fma_f16 v65, v63, s17, v66
	v_fma_f16 v61, v61, s8, -v66
	v_fma_f16 v63, v63, s19, -v67
	v_add_f16_e32 v58, v58, v62
	v_add_f16_e32 v64, v64, v62
	v_add_f16_e32 v31, v31, v62
	v_fma_f16 v62, v56, s18, v65
	v_fma_f16 v61, v56, s18, v61
	v_fma_f16 v56, v56, s18, v63
	v_add_f16_e32 v63, v62, v58
	v_sub_f16_e32 v58, v58, v62
	v_mov_b32_e32 v62, 1
	v_add_f16_e32 v65, v56, v31
	v_sub_f16_e32 v66, v64, v61
	v_add_f16_e32 v61, v61, v64
	v_sub_f16_e32 v31, v31, v56
	v_mul_u32_u24_e32 v56, 0xee, v75
	v_lshlrev_b32_sdwa v64, v62, v76 dst_sel:DWORD dst_unused:UNUSED_PAD src0_sel:DWORD src1_sel:BYTE_0
	v_add3_u32 v56, 0, v56, v64
	ds_write_b16 v56, v24
	ds_write_b16 v56, v57 offset:34
	ds_write_b16 v56, v59 offset:68
	;; [unrolled: 1-line block ×6, first 2 shown]
	v_mul_u32_u24_e32 v17, 0xee, v77
	v_lshlrev_b32_sdwa v24, v62, v78 dst_sel:DWORD dst_unused:UNUSED_PAD src0_sel:DWORD src1_sel:BYTE_0
	v_add3_u32 v57, 0, v17, v24
	v_lshlrev_b32_e32 v41, 1, v79
	ds_write_b16 v57, v23
	ds_write_b16 v57, v63 offset:34
	ds_write_b16 v57, v65 offset:68
	;; [unrolled: 1-line block ×6, first 2 shown]
	s_and_saveexec_b64 s[6:7], s[0:1]
	s_cbranch_execz .LBB0_19
; %bb.18:
	v_add_f16_e32 v17, v10, v39
	v_add_f16_e32 v25, v22, v38
	;; [unrolled: 1-line block ×4, first 2 shown]
	v_sub_f16_e32 v60, v36, v34
	v_sub_f16_e32 v62, v33, v35
	;; [unrolled: 1-line block ×4, first 2 shown]
	v_add_f16_e32 v23, v23, v59
	v_sub_f16_e32 v59, v30, v40
	v_sub_f16_e32 v63, v60, v62
	v_mul_f16_e32 v24, 0x3a52, v24
	v_mul_f16_e32 v58, 0x2b26, v31
	v_add_f16_e32 v16, v16, v23
	v_sub_f16_e32 v61, v59, v60
	v_mul_f16_e32 v63, 0xb846, v63
	v_add_f16_e32 v60, v60, v62
	v_sub_f16_e32 v17, v25, v17
	v_sub_f16_e32 v25, v62, v59
	v_fma_f16 v31, v31, s9, v24
	v_fma_f16 v23, v23, s14, v16
	;; [unrolled: 1-line block ×3, first 2 shown]
	v_add_f16_e32 v60, v60, v59
	v_fma_f16 v24, v17, s16, -v24
	v_mul_f16_e32 v59, 0x3b00, v25
	v_fma_f16 v25, v25, s8, -v63
	v_fma_f16 v17, v17, s15, -v58
	v_add_f16_e32 v31, v31, v23
	v_fma_f16 v64, v60, s18, v64
	v_fma_f16 v25, v60, s18, v25
	v_add_f16_e32 v17, v17, v23
	v_sub_f16_e32 v65, v31, v64
	v_add_f16_e32 v24, v24, v23
	v_add_f16_e32 v23, v25, v17
	v_sub_f16_e32 v17, v17, v25
	v_add_f16_e32 v25, v64, v31
	v_mul_lo_u16_e32 v31, 0x77, v0
	v_fma_f16 v59, v61, s19, -v59
	v_lshlrev_b32_e32 v31, 1, v31
	v_fma_f16 v59, v60, s18, v59
	v_add3_u32 v31, 0, v41, v31
	v_sub_f16_e32 v61, v24, v59
	v_add_f16_e32 v24, v59, v24
	ds_write_b16 v31, v16
	ds_write_b16 v31, v25 offset:34
	ds_write_b16 v31, v24 offset:68
	;; [unrolled: 1-line block ×6, first 2 shown]
.LBB0_19:
	s_or_b64 exec, exec, s[6:7]
	v_add_f16_e32 v16, v48, v55
	v_add_f16_e32 v23, v49, v53
	v_sub_f16_e32 v17, v45, v54
	v_sub_f16_e32 v24, v46, v44
	v_add_f16_e32 v25, v50, v52
	v_sub_f16_e32 v31, v51, v47
	v_add_f16_e32 v44, v23, v16
	v_sub_f16_e32 v45, v23, v16
	v_sub_f16_e32 v16, v16, v25
	v_sub_f16_e32 v23, v25, v23
	v_add_f16_e32 v46, v31, v24
	v_sub_f16_e32 v47, v31, v24
	v_sub_f16_e32 v24, v24, v17
	v_add_f16_e32 v25, v25, v44
	v_sub_f16_e32 v31, v17, v31
	v_add_f16_e32 v17, v46, v17
	v_add_f16_e32 v44, v2, v25
	v_mul_f16_e32 v2, 0x3a52, v16
	v_mul_f16_e32 v16, 0x2b26, v23
	;; [unrolled: 1-line block ×4, first 2 shown]
	v_fma_f16 v25, v25, s14, v44
	v_fma_f16 v23, v23, s9, v2
	v_fma_f16 v16, v45, s15, -v16
	v_fma_f16 v2, v45, s16, -v2
	v_fma_f16 v45, v31, s17, v46
	v_fma_f16 v24, v24, s8, -v46
	v_fma_f16 v31, v31, s19, -v47
	v_add_f16_e32 v23, v23, v25
	v_add_f16_e32 v16, v16, v25
	;; [unrolled: 1-line block ×3, first 2 shown]
	v_fma_f16 v25, v17, s18, v45
	v_fma_f16 v24, v17, s18, v24
	;; [unrolled: 1-line block ×3, first 2 shown]
	v_sub_f16_e32 v46, v2, v17
	v_add_f16_e32 v47, v24, v16
	v_sub_f16_e32 v48, v16, v24
	v_add_f16_e32 v49, v17, v2
	v_add_f16_e32 v2, v19, v43
	;; [unrolled: 1-line block ×3, first 2 shown]
	v_sub_f16_e32 v11, v11, v42
	v_sub_f16_e32 v15, v15, v29
	v_add_f16_e32 v17, v21, v28
	v_sub_f16_e32 v18, v26, v18
	v_add_f16_e32 v19, v16, v2
	;; [unrolled: 2-line block ×3, first 2 shown]
	v_sub_f16_e32 v20, v16, v2
	v_sub_f16_e32 v2, v2, v17
	;; [unrolled: 1-line block ×3, first 2 shown]
	v_add_f16_e32 v21, v18, v15
	v_sub_f16_e32 v23, v18, v15
	v_sub_f16_e32 v15, v15, v11
	v_add_f16_e32 v17, v17, v19
	v_sub_f16_e32 v18, v11, v18
	v_add_f16_e32 v11, v21, v11
	v_add_f16_e32 v1, v1, v17
	v_mul_f16_e32 v2, 0x3a52, v2
	v_mul_f16_e32 v19, 0x2b26, v16
	;; [unrolled: 1-line block ×4, first 2 shown]
	v_fma_f16 v17, v17, s14, v1
	v_fma_f16 v16, v16, s9, v2
	v_fma_f16 v19, v20, s15, -v19
	v_fma_f16 v2, v20, s16, -v2
	v_fma_f16 v20, v18, s17, v21
	v_fma_f16 v15, v15, s8, -v21
	v_fma_f16 v18, v18, s19, -v23
	v_add_f16_e32 v16, v16, v17
	v_add_f16_e32 v19, v19, v17
	;; [unrolled: 1-line block ×3, first 2 shown]
	v_fma_f16 v17, v11, s18, v20
	v_fma_f16 v15, v11, s18, v15
	v_fma_f16 v11, v11, s18, v18
	v_sub_f16_e32 v42, v16, v17
	v_sub_f16_e32 v43, v2, v11
	v_add_f16_e32 v51, v15, v19
	v_sub_f16_e32 v52, v19, v15
	v_add_f16_e32 v53, v11, v2
	v_add_f16_e32 v54, v17, v16
	s_waitcnt lgkmcnt(0)
	s_barrier
	ds_read_u16 v17, v14
	ds_read_u16 v2, v12
	ds_read_u16 v16, v12 offset:714
	ds_read_u16 v15, v12 offset:952
	ds_read_u16 v20, v12 offset:1190
	ds_read_u16 v21, v12 offset:1428
	ds_read_u16 v24, v12 offset:1666
	ds_read_u16 v18, v12 offset:1904
	ds_read_u16 v11, v12 offset:2142
	ds_read_u16 v28, v12 offset:2380
	ds_read_u16 v31, v12 offset:2618
	ds_read_u16 v32, v12 offset:2856
	ds_read_u16 v19, v12 offset:3094
	ds_read_u16 v26, v12 offset:3332
	ds_read_u16 v25, v12 offset:3570
	ds_read_u16 v23, v13
	ds_read_u16 v29, v12 offset:3808
	s_waitcnt lgkmcnt(0)
	s_barrier
	ds_write_b16 v56, v44
	ds_write_b16 v56, v45 offset:34
	ds_write_b16 v56, v46 offset:68
	;; [unrolled: 1-line block ×6, first 2 shown]
	ds_write_b16 v57, v1
	ds_write_b16 v57, v42 offset:34
	ds_write_b16 v57, v43 offset:68
	;; [unrolled: 1-line block ×6, first 2 shown]
	s_and_saveexec_b64 s[6:7], s[0:1]
	s_cbranch_execz .LBB0_21
; %bb.20:
	v_add_f16_e32 v1, v30, v40
	v_add_f16_e32 v30, v33, v35
	;; [unrolled: 1-line block ×4, first 2 shown]
	v_sub_f16_e32 v35, v30, v1
	v_sub_f16_e32 v1, v1, v33
	;; [unrolled: 1-line block ×3, first 2 shown]
	v_mul_f16_e32 v1, 0x3a52, v1
	s_movk_i32 s0, 0x2b26
	v_sub_f16_e32 v22, v22, v38
	v_sub_f16_e32 v27, v37, v27
	v_add_f16_e32 v33, v33, v34
	v_mul_f16_e32 v34, 0x2b26, v30
	v_fma_f16 v30, v30, s0, v1
	s_movk_i32 s0, 0x39e0
	v_sub_f16_e32 v10, v10, v39
	v_add_f16_e32 v36, v27, v22
	v_sub_f16_e32 v37, v27, v22
	v_fma_f16 v34, v35, s0, -v34
	s_mov_b32 s0, 0xb9e0
	v_sub_f16_e32 v27, v10, v27
	v_sub_f16_e32 v22, v22, v10
	v_add_f16_e32 v10, v36, v10
	v_mul_f16_e32 v36, 0xb846, v37
	v_fma_f16 v1, v35, s0, -v1
	s_movk_i32 s0, 0x3574
	v_add_f16_e32 v3, v3, v33
	s_movk_i32 s1, 0x3b00
	v_mul_f16_e32 v37, 0x3b00, v22
	s_mov_b32 s8, 0xbcab
	v_fma_f16 v35, v27, s0, v36
	s_mov_b32 s0, 0xb574
	v_mul_lo_u16_e32 v0, 0x77, v0
	v_fma_f16 v33, v33, s8, v3
	v_fma_f16 v22, v22, s1, -v36
	v_fma_f16 v27, v27, s0, -v37
	s_movk_i32 s0, 0x370e
	v_lshlrev_b32_e32 v0, 1, v0
	v_add_f16_e32 v30, v30, v33
	v_add_f16_e32 v34, v34, v33
	;; [unrolled: 1-line block ×3, first 2 shown]
	v_fma_f16 v33, v10, s0, v35
	v_fma_f16 v22, v10, s0, v22
	v_fma_f16 v10, v10, s0, v27
	v_add3_u32 v0, 0, v41, v0
	v_sub_f16_e32 v27, v30, v33
	v_sub_f16_e32 v35, v1, v10
	v_add_f16_e32 v36, v22, v34
	v_sub_f16_e32 v22, v34, v22
	v_add_f16_e32 v1, v10, v1
	v_add_f16_e32 v10, v33, v30
	ds_write_b16 v0, v3
	ds_write_b16 v0, v27 offset:34
	ds_write_b16 v0, v35 offset:68
	;; [unrolled: 1-line block ×6, first 2 shown]
.LBB0_21:
	s_or_b64 exec, exec, s[6:7]
	s_waitcnt lgkmcnt(0)
	s_barrier
	s_and_saveexec_b64 s[0:1], vcc
	s_cbranch_execz .LBB0_23
; %bb.22:
	v_lshlrev_b32_e32 v0, 4, v9
	v_mov_b32_e32 v1, 0
	v_lshlrev_b64 v[0:1], 2, v[0:1]
	v_mov_b32_e32 v3, s13
	v_add_co_u32_e32 v9, vcc, s12, v0
	v_addc_co_u32_e32 v10, vcc, v3, v1, vcc
	global_load_dwordx4 v[35:38], v[9:10], off offset:456
	global_load_dwordx4 v[41:44], v[9:10], off offset:408
	;; [unrolled: 1-line block ×4, first 2 shown]
	v_mul_lo_u32 v3, s5, v6
	v_mul_lo_u32 v7, s4, v7
	v_mad_u64_u32 v[0:1], s[0:1], s4, v6, 0
	ds_read_u16 v6, v14
	ds_read_u16 v10, v12
	ds_read_u16 v9, v12 offset:714
	ds_read_u16 v14, v12 offset:952
	;; [unrolled: 1-line block ×7, first 2 shown]
	ds_read_u16 v13, v13
	v_add3_u32 v1, v1, v7, v3
	ds_read_u16 v3, v12 offset:3808
	ds_read_u16 v33, v12 offset:3570
	;; [unrolled: 1-line block ×5, first 2 shown]
	s_movk_i32 s6, 0x35c8
	s_movk_i32 s13, 0x3964
	;; [unrolled: 1-line block ×12, first 2 shown]
	s_mov_b32 s8, 0xb461
	s_mov_b32 s9, 0xb8d2
	;; [unrolled: 1-line block ×11, first 2 shown]
	v_lshlrev_b64 v[0:1], 2, v[0:1]
	s_waitcnt vmcnt(3)
	v_mul_f16_sdwa v7, v29, v38 dst_sel:DWORD dst_unused:UNUSED_PAD src0_sel:DWORD src1_sel:WORD_1
	s_waitcnt vmcnt(2)
	v_mul_f16_sdwa v27, v23, v41 dst_sel:DWORD dst_unused:UNUSED_PAD src0_sel:DWORD src1_sel:WORD_1
	s_waitcnt lgkmcnt(5)
	v_mul_f16_sdwa v30, v13, v41 dst_sel:DWORD dst_unused:UNUSED_PAD src0_sel:DWORD src1_sel:WORD_1
	s_waitcnt lgkmcnt(4)
	v_mul_f16_sdwa v34, v3, v38 dst_sel:DWORD dst_unused:UNUSED_PAD src0_sel:DWORD src1_sel:WORD_1
	v_mul_f16_sdwa v45, v25, v37 dst_sel:DWORD dst_unused:UNUSED_PAD src0_sel:DWORD src1_sel:WORD_1
	;; [unrolled: 1-line block ×3, first 2 shown]
	s_waitcnt lgkmcnt(3)
	v_mul_f16_sdwa v50, v33, v37 dst_sel:DWORD dst_unused:UNUSED_PAD src0_sel:DWORD src1_sel:WORD_1
	v_mul_f16_sdwa v51, v26, v36 dst_sel:DWORD dst_unused:UNUSED_PAD src0_sel:DWORD src1_sel:WORD_1
	s_waitcnt lgkmcnt(2)
	v_mul_f16_sdwa v55, v48, v36 dst_sel:DWORD dst_unused:UNUSED_PAD src0_sel:DWORD src1_sel:WORD_1
	v_mul_f16_sdwa v57, v15, v44 dst_sel:DWORD dst_unused:UNUSED_PAD src0_sel:DWORD src1_sel:WORD_1
	v_fma_f16 v22, v3, v38, v7
	v_fma_f16 v27, v13, v41, v27
	v_mul_f16_sdwa v47, v6, v42 dst_sel:DWORD dst_unused:UNUSED_PAD src0_sel:DWORD src1_sel:WORD_1
	v_mul_f16_sdwa v52, v16, v43 dst_sel:DWORD dst_unused:UNUSED_PAD src0_sel:DWORD src1_sel:WORD_1
	;; [unrolled: 1-line block ×4, first 2 shown]
	s_waitcnt lgkmcnt(1)
	v_mul_f16_sdwa v59, v54, v35 dst_sel:DWORD dst_unused:UNUSED_PAD src0_sel:DWORD src1_sel:WORD_1
	v_fma_f16 v41, v23, v41, -v30
	v_fma_f16 v29, v29, v38, -v34
	v_fma_f16 v23, v33, v37, v45
	v_fma_f16 v30, v6, v42, v46
	v_fma_f16 v34, v25, v37, -v50
	v_fma_f16 v25, v48, v36, v51
	v_fma_f16 v38, v26, v36, -v55
	v_fma_f16 v36, v14, v44, v57
	v_add_f16_e32 v14, v22, v27
	v_fma_f16 v45, v17, v42, -v47
	v_fma_f16 v33, v9, v43, v52
	v_fma_f16 v46, v16, v43, -v53
	v_fma_f16 v48, v15, v44, -v58
	v_fma_f16 v43, v19, v35, -v59
	v_sub_f16_e32 v59, v41, v29
	v_add_f16_e32 v15, v23, v30
	v_mul_f16_e32 v67, 0x3b76, v14
	v_sub_f16_e32 v60, v45, v34
	v_add_f16_e32 v16, v25, v33
	v_mul_f16_e32 v66, 0x39e9, v15
	v_fma_f16 v3, v59, s6, v67
	v_sub_f16_e32 v57, v46, v38
	v_mul_f16_e32 v64, 0x3722, v16
	v_fma_f16 v6, v60, s13, v66
	v_add_f16_e32 v3, v10, v3
	v_fma_f16 v7, v57, s7, v64
	v_add_f16_e32 v3, v3, v6
	ds_read_u16 v6, v12 offset:2618
	v_mul_f16_sdwa v56, v19, v35 dst_sel:DWORD dst_unused:UNUSED_PAD src0_sel:DWORD src1_sel:WORD_1
	v_add_f16_e32 v3, v3, v7
	s_waitcnt vmcnt(0)
	v_mul_f16_sdwa v7, v20, v86 dst_sel:DWORD dst_unused:UNUSED_PAD src0_sel:DWORD src1_sel:WORD_1
	v_mul_f16_sdwa v65, v32, v85 dst_sel:DWORD dst_unused:UNUSED_PAD src0_sel:DWORD src1_sel:WORD_1
	v_fma_f16 v26, v54, v35, v56
	v_fma_f16 v50, v39, v86, v7
	v_mul_f16_sdwa v7, v39, v86 dst_sel:DWORD dst_unused:UNUSED_PAD src0_sel:DWORD src1_sel:WORD_1
	v_add_f16_e32 v17, v26, v36
	s_waitcnt lgkmcnt(1)
	v_fma_f16 v47, v61, v85, v65
	v_fma_f16 v54, v20, v86, -v7
	v_mul_f16_sdwa v7, v61, v85 dst_sel:DWORD dst_unused:UNUSED_PAD src0_sel:DWORD src1_sel:WORD_1
	v_sub_f16_e32 v58, v48, v43
	v_mul_f16_e32 v63, 0x2de8, v17
	v_add_f16_e32 v19, v47, v50
	v_fma_f16 v53, v32, v85, -v7
	v_fma_f16 v9, v58, s15, v63
	v_mul_f16_e32 v70, 0xb461, v19
	v_sub_f16_e32 v74, v54, v53
	v_add_f16_e32 v3, v3, v9
	ds_read_u16 v9, v12 offset:2380
	v_fma_f16 v7, v74, s16, v70
	v_add_f16_e32 v3, v3, v7
	v_mul_f16_sdwa v7, v31, v84 dst_sel:DWORD dst_unused:UNUSED_PAD src0_sel:DWORD src1_sel:WORD_1
	s_waitcnt lgkmcnt(1)
	v_fma_f16 v51, v6, v84, v7
	v_mul_f16_sdwa v7, v21, v87 dst_sel:DWORD dst_unused:UNUSED_PAD src0_sel:DWORD src1_sel:WORD_1
	v_fma_f16 v52, v40, v87, v7
	v_mul_f16_sdwa v7, v40, v87 dst_sel:DWORD dst_unused:UNUSED_PAD src0_sel:DWORD src1_sel:WORD_1
	v_mul_f16_sdwa v6, v6, v84 dst_sel:DWORD dst_unused:UNUSED_PAD src0_sel:DWORD src1_sel:WORD_1
	v_add_f16_e32 v20, v51, v52
	v_fma_f16 v65, v21, v87, -v7
	v_fma_f16 v61, v31, v84, -v6
	v_mul_f16_e32 v75, 0xb8d2, v20
	v_sub_f16_e32 v78, v65, v61
	v_fma_f16 v6, v78, s26, v75
	v_add_f16_e32 v3, v3, v6
	v_mul_f16_sdwa v6, v28, v83 dst_sel:DWORD dst_unused:UNUSED_PAD src0_sel:DWORD src1_sel:WORD_1
	s_waitcnt lgkmcnt(0)
	v_fma_f16 v55, v9, v83, v6
	v_mul_f16_sdwa v6, v24, v88 dst_sel:DWORD dst_unused:UNUSED_PAD src0_sel:DWORD src1_sel:WORD_1
	v_fma_f16 v56, v49, v88, v6
	v_mul_f16_sdwa v6, v49, v88 dst_sel:DWORD dst_unused:UNUSED_PAD src0_sel:DWORD src1_sel:WORD_1
	v_fma_f16 v73, v24, v88, -v6
	v_mul_f16_sdwa v6, v9, v83 dst_sel:DWORD dst_unused:UNUSED_PAD src0_sel:DWORD src1_sel:WORD_1
	v_add_f16_e32 v21, v55, v56
	v_fma_f16 v71, v28, v83, -v6
	v_mul_f16_e32 v79, 0xbacd, v21
	v_sub_f16_e32 v80, v73, v71
	v_fma_f16 v6, v80, s18, v79
	v_add_f16_e32 v3, v3, v6
	v_mul_f16_sdwa v6, v11, v82 dst_sel:DWORD dst_unused:UNUSED_PAD src0_sel:DWORD src1_sel:WORD_1
	v_fma_f16 v68, v62, v82, v6
	v_mul_f16_sdwa v6, v18, v89 dst_sel:DWORD dst_unused:UNUSED_PAD src0_sel:DWORD src1_sel:WORD_1
	v_fma_f16 v69, v72, v89, v6
	v_mul_f16_sdwa v6, v72, v89 dst_sel:DWORD dst_unused:UNUSED_PAD src0_sel:DWORD src1_sel:WORD_1
	v_fma_f16 v76, v18, v89, -v6
	v_mul_f16_sdwa v6, v62, v82 dst_sel:DWORD dst_unused:UNUSED_PAD src0_sel:DWORD src1_sel:WORD_1
	v_add_f16_e32 v24, v68, v69
	v_fma_f16 v77, v11, v82, -v6
	v_mul_f16_e32 v81, 0xbbdd, v24
	v_sub_f16_e32 v83, v76, v77
	v_sub_f16_e32 v89, v27, v22
	v_fma_f16 v6, v83, s24, v81
	v_add_f16_e32 v28, v29, v41
	v_mul_f16_e32 v84, 0xb5c8, v89
	v_sub_f16_e32 v90, v30, v23
	v_add_f16_e32 v3, v3, v6
	v_fma_f16 v6, v28, s1, v84
	v_add_f16_e32 v31, v34, v45
	v_mul_f16_e32 v85, 0xb964, v90
	v_sub_f16_e32 v91, v33, v25
	v_add_f16_e32 v6, v2, v6
	;; [unrolled: 5-line block ×7, first 2 shown]
	v_fma_f16 v7, v42, s12, v98
	v_add_f16_e32 v44, v77, v76
	v_mul_f16_e32 v100, 0xb1e1, v99
	v_add_f16_e32 v6, v6, v7
	v_fma_f16 v7, v44, s14, v100
	v_mul_f16_e32 v101, 0x39e9, v14
	v_add_f16_e32 v6, v6, v7
	v_fma_f16 v7, v59, s13, v101
	;; [unrolled: 3-line block ×56, first 2 shown]
	v_mul_f16_e32 v152, 0x2de8, v24
	v_fma_f16 v62, v59, s23, v62
	s_mov_b32 s26, 0xba62
	v_add_f16_e32 v32, v32, v49
	v_fma_f16 v49, v83, s25, v152
	v_mul_f16_e32 v153, 0xb1e1, v89
	v_add_f16_e32 v62, v10, v62
	v_fma_f16 v72, v60, s6, v72
	v_fma_f16 v133, v59, s26, v133
	v_add_f16_e32 v32, v32, v49
	v_fma_f16 v49, v28, s14, v153
	v_mul_f16_e32 v154, 0x35c8, v90
	v_add_f16_e32 v62, v62, v72
	v_fma_f16 v72, v57, s22, v82
	v_add_f16_e32 v133, v10, v133
	v_fma_f16 v134, v60, s16, v134
	;; [unrolled: 2-line block ×5, first 2 shown]
	v_add_f16_e32 v49, v49, v155
	v_mul_f16_e32 v155, 0xb836, v91
	v_add_f16_e32 v62, v62, v72
	v_fma_f16 v72, v74, s26, v149
	v_add_f16_e32 v133, v133, v134
	v_fma_f16 v134, v58, s22, v136
	v_fma_f16 v156, v35, s12, v155
	v_add_f16_e32 v62, v62, v72
	v_fma_f16 v72, v78, s7, v150
	v_add_f16_e32 v133, v133, v134
	;; [unrolled: 2-line block ×3, first 2 shown]
	v_mul_f16_e32 v156, 0x3964, v92
	v_add_f16_e32 v62, v62, v72
	v_fma_f16 v72, v80, s21, v151
	v_add_f16_e32 v133, v133, v134
	v_fma_f16 v134, v78, s19, v138
	v_fma_f16 v157, v37, s0, v156
	v_add_f16_e32 v62, v62, v72
	v_fma_f16 v72, v83, s15, v152
	v_add_f16_e32 v133, v133, v134
	;; [unrolled: 2-line block ×3, first 2 shown]
	v_mul_f16_e32 v157, 0xba62, v93
	v_add_f16_e32 v62, v62, v72
	v_fma_f16 v72, v28, s14, -v153
	v_add_f16_e32 v133, v133, v134
	v_fma_f16 v134, v83, s7, v140
	v_fma_f16 v158, v40, s9, v157
	v_add_f16_e32 v72, v2, v72
	v_fma_f16 v82, v31, s1, -v154
	v_add_f16_e32 v133, v133, v134
	v_fma_f16 v134, v28, s9, -v141
	v_add_f16_e32 v49, v49, v158
	v_mul_f16_e32 v158, 0x3b29, v95
	v_add_f16_e32 v72, v72, v82
	v_fma_f16 v82, v35, s12, -v155
	v_add_f16_e32 v134, v2, v134
	v_fma_f16 v135, v31, s8, -v142
	v_fma_f16 v159, v39, s4, v158
	v_add_f16_e32 v72, v72, v82
	v_fma_f16 v82, v37, s0, -v156
	v_add_f16_e32 v134, v134, v135
	v_fma_f16 v135, v35, s1, -v143
	v_add_f16_e32 v49, v49, v159
	v_mul_f16_e32 v159, 0xbbb2, v97
	v_add_f16_e32 v72, v72, v82
	v_fma_f16 v82, v40, s9, -v157
	v_add_f16_e32 v134, v134, v135
	v_fma_f16 v135, v37, s12, -v144
	;; [unrolled: 11-line block ×3, first 2 shown]
	v_add_f16_e32 v72, v72, v82
	v_fma_f16 v82, v44, s5, -v160
	v_mul_f16_e32 v149, 0xb836, v59
	v_add_f16_e32 v134, v134, v135
	v_fma_f16 v135, v42, s14, -v147
	v_add_f16_e32 v72, v72, v82
	v_fma_f16 v82, v14, s12, v149
	v_mul_f16_e32 v150, 0x3b29, v60
	v_add_f16_e32 v134, v134, v135
	v_fma_f16 v135, v44, s4, -v148
	v_add_f16_e32 v82, v10, v82
	v_fma_f16 v88, v15, s4, v150
	v_mul_f16_e32 v151, 0xbbf7, v57
	v_add_f16_e32 v134, v134, v135
	v_mul_f16_e32 v135, 0xbbb2, v59
	v_add_f16_e32 v82, v82, v88
	v_fma_f16 v88, v16, s5, v151
	v_mul_f16_e32 v152, 0x3a62, v58
	v_fma_f16 v136, v14, s8, v135
	v_mul_f16_e32 v137, 0x3836, v60
	v_add_f16_e32 v82, v82, v88
	v_fma_f16 v88, v17, s9, v152
	v_mul_f16_e32 v153, 0xb5c8, v74
	v_add_f16_e32 v136, v10, v136
	v_fma_f16 v138, v15, s12, v137
	v_add_f16_e32 v82, v82, v88
	v_fma_f16 v88, v19, s1, v153
	v_mul_f16_e32 v154, 0xb1e1, v78
	v_add_f16_e32 v136, v136, v138
	v_mul_f16_e32 v138, 0x3964, v57
	v_add_f16_e32 v82, v82, v88
	v_fma_f16 v88, v20, s14, v154
	v_mul_f16_e32 v155, 0x3964, v80
	v_fma_f16 v139, v16, s0, v138
	v_add_f16_e32 v82, v82, v88
	v_fma_f16 v88, v21, s0, v155
	v_mul_f16_e32 v156, 0xbbb2, v83
	v_add_f16_e32 v136, v136, v139
	v_mul_f16_e32 v139, 0xbb29, v58
	v_add_f16_e32 v82, v82, v88
	v_fma_f16 v88, v24, s8, v156
	v_mul_f16_e32 v157, 0xb836, v89
	v_fma_f16 v140, v17, s4, v139
	v_add_f16_e32 v27, v10, v27
	v_add_f16_e32 v82, v82, v88
	v_fma_f16 v88, v28, s12, -v157
	v_mul_f16_e32 v158, 0x3b29, v90
	v_add_f16_e32 v136, v136, v140
	v_mul_f16_e32 v140, 0xb1e1, v74
	v_add_f16_e32 v27, v27, v30
	v_add_f16_e32 v88, v2, v88
	v_fma_f16 v159, v31, s4, -v158
	v_fma_f16 v141, v19, s14, v140
	v_add_f16_e32 v27, v27, v33
	v_add_f16_e32 v88, v88, v159
	v_mul_f16_e32 v159, 0xbbf7, v91
	v_add_f16_e32 v136, v136, v141
	v_mul_f16_e32 v141, 0x3bf7, v78
	v_add_f16_e32 v27, v27, v36
	v_fma_f16 v161, v44, s5, v160
	v_fma_f16 v160, v35, s5, -v159
	v_fma_f16 v142, v20, s5, v141
	v_add_f16_e32 v27, v27, v50
	v_add_f16_e32 v88, v88, v160
	v_mul_f16_e32 v160, 0x3a62, v92
	v_add_f16_e32 v136, v136, v142
	v_mul_f16_e32 v142, 0xb5c8, v80
	v_add_f16_e32 v27, v27, v52
	v_add_f16_e32 v49, v49, v161
	v_fma_f16 v161, v37, s9, -v160
	v_fma_f16 v143, v21, s1, v142
	v_add_f16_e32 v27, v27, v56
	v_add_f16_e32 v88, v88, v161
	v_mul_f16_e32 v161, 0xb5c8, v93
	v_add_f16_e32 v136, v136, v143
	v_mul_f16_e32 v143, 0xba62, v83
	v_add_f16_e32 v27, v27, v69
	v_fma_f16 v162, v40, s1, -v161
	v_fma_f16 v144, v24, s9, v143
	v_add_f16_e32 v27, v68, v27
	v_add_f16_e32 v88, v88, v162
	v_mul_f16_e32 v162, 0xb1e1, v95
	v_add_f16_e32 v136, v136, v144
	v_mul_f16_e32 v144, 0xbbb2, v89
	v_add_f16_e32 v27, v55, v27
	v_fma_f16 v163, v39, s14, -v162
	v_fma_f16 v145, v28, s8, -v144
	v_mul_f16_e32 v146, 0x3836, v90
	v_add_f16_e32 v27, v51, v27
	v_add_f16_e32 v88, v88, v163
	v_mul_f16_e32 v163, 0x3964, v97
	v_add_f16_e32 v145, v2, v145
	v_fma_f16 v147, v31, s12, -v146
	v_add_f16_e32 v27, v47, v27
	v_fma_f16 v164, v42, s0, -v163
	v_add_f16_e32 v145, v145, v147
	v_mul_f16_e32 v147, 0x3964, v91
	v_add_f16_e32 v26, v26, v27
	v_add_f16_e32 v88, v88, v164
	v_mul_f16_e32 v164, 0xbbb2, v99
	v_fma_f16 v148, v35, s0, -v147
	v_add_f16_e32 v25, v25, v26
	v_fma_f16 v165, v44, s8, -v164
	v_add_f16_e32 v145, v145, v148
	v_mul_f16_e32 v148, 0xbb29, v92
	v_add_f16_e32 v23, v23, v25
	v_add_f16_e32 v88, v88, v165
	v_fma_f16 v165, v37, s4, -v148
	v_add_f16_e32 v22, v22, v23
	v_fma_f16 v23, v14, s12, -v149
	v_add_f16_e32 v145, v145, v165
	v_mul_f16_e32 v165, 0xb1e1, v93
	v_add_f16_e32 v23, v10, v23
	v_fma_f16 v25, v15, s4, -v150
	v_fma_f16 v166, v40, s14, -v165
	v_add_f16_e32 v23, v23, v25
	v_fma_f16 v25, v16, s5, -v151
	v_add_f16_e32 v145, v145, v166
	v_mul_f16_e32 v166, 0x3bf7, v95
	v_add_f16_e32 v23, v23, v25
	v_fma_f16 v25, v17, s9, -v152
	;; [unrolled: 7-line block ×4, first 2 shown]
	v_fma_f16 v169, v44, s9, -v168
	v_add_f16_e32 v23, v23, v25
	v_fma_f16 v25, v28, s12, v157
	v_add_f16_e32 v145, v145, v169
	v_mul_f16_e32 v169, 0xbbf7, v59
	v_add_f16_e32 v25, v2, v25
	v_fma_f16 v26, v31, s4, v158
	v_fma_f16 v170, v14, s5, v169
	v_mul_f16_e32 v171, 0xb1e1, v60
	v_add_f16_e32 v25, v25, v26
	v_fma_f16 v26, v35, s5, v159
	v_add_f16_e32 v170, v10, v170
	v_fma_f16 v172, v15, s14, v171
	;; [unrolled: 2-line block ×3, first 2 shown]
	v_add_f16_e32 v170, v170, v172
	v_mul_f16_e32 v172, 0x3bb2, v57
	v_add_f16_e32 v25, v25, v26
	v_fma_f16 v26, v40, s1, v161
	v_fma_f16 v173, v16, s8, v172
	v_add_f16_e32 v25, v25, v26
	v_fma_f16 v26, v39, s14, v162
	v_add_f16_e32 v170, v170, v173
	v_mul_f16_e32 v173, 0x35c8, v58
	v_add_f16_e32 v25, v25, v26
	v_fma_f16 v26, v42, s0, v163
	v_fma_f16 v174, v17, s1, v173
	;; [unrolled: 1-line block ×4, first 2 shown]
	v_add_f16_e32 v25, v25, v26
	v_fma_f16 v26, v44, s8, v164
	v_add_f16_e32 v170, v170, v174
	v_mul_f16_e32 v174, 0xbb29, v74
	v_add_f16_e32 v117, v10, v117
	v_fma_f16 v118, v60, s26, v118
	v_add_f16_e32 v101, v10, v101
	v_fma_f16 v102, v60, s25, v102
	v_fma_f16 v59, v59, s17, v67
	v_add_f16_e32 v25, v25, v26
	v_fma_f16 v26, v14, s8, -v135
	v_fma_f16 v14, v14, s5, -v169
	v_fma_f16 v175, v19, s4, v174
	v_add_f16_e32 v117, v117, v118
	v_fma_f16 v118, v57, s24, v119
	v_add_f16_e32 v101, v101, v102
	v_fma_f16 v102, v57, s26, v103
	v_fma_f16 v60, v60, s19, v66
	v_add_f16_e32 v59, v10, v59
	v_add_f16_e32 v26, v10, v26
	v_fma_f16 v27, v15, s12, -v137
	v_add_f16_e32 v10, v10, v14
	v_fma_f16 v14, v15, s14, -v171
	v_add_f16_e32 v170, v170, v175
	v_mul_f16_e32 v175, 0xb836, v78
	v_add_f16_e32 v117, v117, v118
	v_fma_f16 v118, v58, s16, v120
	v_add_f16_e32 v101, v101, v102
	v_fma_f16 v102, v58, s23, v104
	;; [unrolled: 2-line block ×3, first 2 shown]
	v_add_f16_e32 v26, v26, v27
	v_fma_f16 v27, v16, s0, -v138
	v_add_f16_e32 v10, v10, v14
	v_fma_f16 v14, v16, s8, -v172
	v_fma_f16 v176, v20, s12, v175
	v_add_f16_e32 v117, v117, v118
	v_fma_f16 v118, v74, s13, v121
	v_add_f16_e32 v101, v101, v102
	;; [unrolled: 2-line block ×4, first 2 shown]
	v_fma_f16 v27, v17, s4, -v139
	v_add_f16_e32 v10, v10, v14
	v_fma_f16 v14, v17, s1, -v173
	v_add_f16_e32 v170, v170, v176
	v_mul_f16_e32 v176, 0x3a62, v80
	v_add_f16_e32 v117, v117, v118
	v_fma_f16 v118, v78, s17, v122
	v_add_f16_e32 v101, v101, v102
	v_fma_f16 v102, v78, s16, v106
	;; [unrolled: 2-line block ×3, first 2 shown]
	v_add_f16_e32 v26, v26, v27
	v_fma_f16 v27, v19, s14, -v140
	v_add_f16_e32 v10, v10, v14
	v_fma_f16 v14, v19, s4, -v174
	v_fma_f16 v177, v21, s9, v176
	v_add_f16_e32 v117, v117, v118
	v_fma_f16 v118, v80, s25, v123
	v_add_f16_e32 v101, v101, v102
	;; [unrolled: 2-line block ×4, first 2 shown]
	v_fma_f16 v27, v20, s5, -v141
	v_add_f16_e32 v10, v10, v14
	v_fma_f16 v14, v20, s12, -v175
	v_add_f16_e32 v170, v170, v177
	v_mul_f16_e32 v177, 0x3964, v83
	v_add_f16_e32 v117, v117, v118
	v_fma_f16 v118, v83, s22, v124
	v_add_f16_e32 v101, v101, v102
	v_fma_f16 v102, v83, s6, v108
	;; [unrolled: 2-line block ×3, first 2 shown]
	v_add_f16_e32 v26, v26, v27
	v_fma_f16 v27, v21, s1, -v142
	v_add_f16_e32 v10, v10, v14
	v_fma_f16 v14, v21, s9, -v176
	v_fma_f16 v178, v24, s0, v177
	v_mul_f16_e32 v89, 0xbbf7, v89
	v_add_f16_e32 v117, v117, v118
	v_fma_f16 v118, v28, s4, -v125
	v_add_f16_e32 v101, v101, v102
	v_fma_f16 v102, v28, s0, -v109
	v_add_f16_e32 v57, v57, v58
	v_fma_f16 v58, v83, s23, v81
	v_add_f16_e32 v26, v26, v27
	v_fma_f16 v27, v24, s9, -v143
	v_add_f16_e32 v10, v10, v14
	v_fma_f16 v14, v24, s0, -v177
	;; [unrolled: 2-line block ×3, first 2 shown]
	v_mul_f16_e32 v90, 0xb1e1, v90
	v_add_f16_e32 v118, v2, v118
	v_fma_f16 v119, v31, s9, -v126
	v_add_f16_e32 v102, v2, v102
	v_fma_f16 v103, v31, s5, -v110
	;; [unrolled: 2-line block ×3, first 2 shown]
	v_add_f16_e32 v26, v26, v27
	v_fma_f16 v27, v28, s8, v144
	v_add_f16_e32 v10, v10, v14
	v_fma_f16 v14, v28, s5, v89
	v_add_f16_e32 v178, v2, v178
	v_mul_f16_e32 v91, 0x3bb2, v91
	v_add_f16_e32 v118, v118, v119
	v_fma_f16 v119, v35, s14, -v127
	v_add_f16_e32 v102, v102, v103
	v_fma_f16 v103, v35, s9, -v111
	v_add_f16_e32 v58, v2, v58
	v_add_f16_e32 v41, v2, v41
	;; [unrolled: 1-line block ×3, first 2 shown]
	v_fma_f16 v30, v31, s12, v146
	v_add_f16_e32 v2, v2, v14
	v_fma_f16 v14, v31, s14, v90
	v_fma_f16 v179, v31, s14, -v90
	v_mul_f16_e32 v92, 0x35c8, v92
	v_add_f16_e32 v118, v118, v119
	v_fma_f16 v119, v37, s8, -v128
	v_add_f16_e32 v102, v102, v103
	v_fma_f16 v103, v37, s14, -v112
	v_add_f16_e32 v27, v27, v30
	v_fma_f16 v30, v35, s0, v147
	v_add_f16_e32 v2, v2, v14
	v_fma_f16 v14, v35, s8, v91
	v_add_f16_e32 v178, v178, v179
	v_fma_f16 v179, v35, s8, -v91
	v_mul_f16_e32 v93, 0xbb29, v93
	v_add_f16_e32 v118, v118, v119
	v_fma_f16 v119, v40, s0, -v129
	v_add_f16_e32 v102, v102, v103
	v_fma_f16 v103, v40, s12, -v113
	v_fma_f16 v59, v31, s0, -v85
	v_add_f16_e32 v27, v27, v30
	v_fma_f16 v30, v37, s4, v148
	v_add_f16_e32 v2, v2, v14
	v_fma_f16 v14, v37, s1, v92
	v_add_f16_e32 v178, v178, v179
	v_fma_f16 v179, v37, s1, -v92
	v_add_f16_e32 v118, v118, v119
	v_fma_f16 v119, v39, s1, -v130
	;; [unrolled: 2-line block ×4, first 2 shown]
	v_add_f16_e32 v27, v27, v30
	v_fma_f16 v30, v40, s14, v165
	v_add_f16_e32 v2, v2, v14
	v_fma_f16 v14, v40, s4, v93
	v_add_f16_e32 v178, v178, v179
	v_fma_f16 v179, v40, s4, -v93
	v_add_f16_e32 v118, v118, v119
	v_fma_f16 v119, v42, s5, -v131
	v_add_f16_e32 v102, v102, v103
	v_fma_f16 v103, v42, s4, -v115
	v_add_f16_e32 v58, v58, v59
	v_fma_f16 v59, v37, s5, -v87
	v_add_f16_e32 v27, v27, v30
	v_fma_f16 v30, v39, s5, v166
	v_add_f16_e32 v2, v2, v14
	v_mad_u64_u32 v[14:15], s[4:5], s2, v8, 0
	v_mul_f16_e32 v95, 0xb836, v95
	v_add_f16_e32 v41, v41, v45
	v_add_f16_e32 v41, v41, v46
	v_fma_f16 v16, v39, s12, v95
	v_mul_f16_e32 v97, 0x3a62, v97
	v_add_f16_e32 v41, v41, v48
	v_add_f16_e32 v17, v2, v16
	v_mov_b32_e32 v2, v15
	v_mul_f16_e32 v99, 0x3964, v99
	v_add_f16_e32 v41, v41, v54
	v_fma_f16 v19, v42, s9, v97
	v_mad_u64_u32 v[15:16], s[4:5], s3, v8, v[2:3]
	v_add_f16_e32 v41, v41, v65
	v_add_f16_e32 v2, v17, v19
	v_fma_f16 v16, v44, s0, v99
	v_add_f16_e32 v41, v41, v73
	v_add_f16_e32 v17, v2, v16
	v_mov_b32_e32 v2, s11
	v_add_co_u32_e32 v16, vcc, s10, v0
	v_add_f16_e32 v41, v41, v76
	v_addc_co_u32_e32 v2, vcc, v2, v1, vcc
	v_lshlrev_b64 v[0:1], 2, v[4:5]
	v_add_f16_e32 v41, v77, v41
	v_add_f16_e32 v178, v178, v179
	v_fma_f16 v179, v39, s12, -v95
	v_add_f16_e32 v41, v71, v41
	v_add_co_u32_e32 v19, vcc, v16, v0
	v_add_f16_e32 v178, v178, v179
	v_fma_f16 v179, v42, s9, -v97
	v_add_f16_e32 v41, v61, v41
	v_addc_co_u32_e32 v20, vcc, v2, v1, vcc
	v_lshlrev_b64 v[0:1], 2, v[14:15]
	v_add_u32_e32 v14, 0x77, v8
	v_add_f16_e32 v178, v178, v179
	v_fma_f16 v179, v44, s0, -v99
	v_add_f16_e32 v102, v102, v103
	v_fma_f16 v103, v44, s1, -v116
	v_add_f16_e32 v41, v53, v41
	v_add_f16_e32 v27, v27, v30
	v_fma_f16 v30, v42, s1, v167
	v_mad_u64_u32 v[4:5], s[0:1], s2, v14, 0
	v_add_f16_e32 v41, v43, v41
	v_add_f16_e32 v38, v38, v41
	;; [unrolled: 1-line block ×4, first 2 shown]
	v_mov_b32_e32 v2, v5
	v_pack_b32_f16 v21, v29, v22
	v_mad_u64_u32 v[14:15], s[0:1], s3, v14, v[2:3]
	v_add_u32_e32 v22, 0xee, v8
	v_mad_u64_u32 v[15:16], s[0:1], s2, v22, 0
	v_add_co_u32_e32 v0, vcc, v19, v0
	v_addc_co_u32_e32 v1, vcc, v20, v1, vcc
	v_mov_b32_e32 v5, v14
	v_mov_b32_e32 v2, v16
	global_store_dword v[0:1], v21, off
	v_lshlrev_b64 v[0:1], 2, v[4:5]
	v_mad_u64_u32 v[4:5], s[0:1], s3, v22, v[2:3]
	v_add_f16_e32 v58, v58, v59
	v_fma_f16 v59, v40, s8, -v94
	v_add_f16_e32 v58, v58, v59
	v_fma_f16 v59, v39, s9, -v96
	v_add_u32_e32 v14, 0x165, v8
	v_add_f16_e32 v58, v58, v59
	v_fma_f16 v59, v42, s12, -v98
	v_mov_b32_e32 v16, v4
	v_mad_u64_u32 v[4:5], s[0:1], s2, v14, 0
	v_add_f16_e32 v58, v58, v59
	v_fma_f16 v59, v44, s14, -v100
	v_add_f16_e32 v58, v58, v59
	v_add_co_u32_e32 v0, vcc, v19, v0
	v_addc_co_u32_e32 v1, vcc, v20, v1, vcc
	v_pack_b32_f16 v2, v58, v57
	global_store_dword v[0:1], v2, off
	v_mov_b32_e32 v2, v5
	v_lshlrev_b64 v[0:1], 2, v[15:16]
	v_mad_u64_u32 v[14:15], s[0:1], s3, v14, v[2:3]
	v_add_u32_e32 v22, 0x1dc, v8
	v_mad_u64_u32 v[15:16], s[0:1], s2, v22, 0
	v_add_f16_e32 v102, v102, v103
	v_add_co_u32_e32 v0, vcc, v19, v0
	v_addc_co_u32_e32 v1, vcc, v20, v1, vcc
	v_pack_b32_f16 v21, v102, v101
	v_mov_b32_e32 v5, v14
	v_mov_b32_e32 v2, v16
	global_store_dword v[0:1], v21, off
	v_lshlrev_b64 v[0:1], 2, v[4:5]
	v_mad_u64_u32 v[4:5], s[0:1], s3, v22, v[2:3]
	v_add_u32_e32 v14, 0x253, v8
	v_add_f16_e32 v118, v118, v119
	v_mov_b32_e32 v16, v4
	v_mad_u64_u32 v[4:5], s[0:1], s2, v14, 0
	v_fma_f16 v119, v44, s12, -v132
	v_add_f16_e32 v118, v118, v119
	v_add_co_u32_e32 v0, vcc, v19, v0
	v_addc_co_u32_e32 v1, vcc, v20, v1, vcc
	v_pack_b32_f16 v2, v118, v117
	global_store_dword v[0:1], v2, off
	v_mov_b32_e32 v2, v5
	v_lshlrev_b64 v[0:1], 2, v[15:16]
	v_mad_u64_u32 v[14:15], s[0:1], s3, v14, v[2:3]
	v_add_u32_e32 v22, 0x2ca, v8
	v_mad_u64_u32 v[15:16], s[0:1], s2, v22, 0
	v_add_f16_e32 v178, v178, v179
	v_add_co_u32_e32 v0, vcc, v19, v0
	v_addc_co_u32_e32 v1, vcc, v20, v1, vcc
	v_pack_b32_f16 v21, v178, v170
	v_mov_b32_e32 v5, v14
	v_mov_b32_e32 v2, v16
	global_store_dword v[0:1], v21, off
	v_lshlrev_b64 v[0:1], 2, v[4:5]
	v_mad_u64_u32 v[4:5], s[0:1], s3, v22, v[2:3]
	v_add_u32_e32 v14, 0x341, v8
	v_add_co_u32_e32 v0, vcc, v19, v0
	v_mov_b32_e32 v16, v4
	v_mad_u64_u32 v[4:5], s[0:1], s2, v14, 0
	v_addc_co_u32_e32 v1, vcc, v20, v1, vcc
	v_pack_b32_f16 v2, v145, v136
	global_store_dword v[0:1], v2, off
	v_mov_b32_e32 v2, v5
	v_lshlrev_b64 v[0:1], 2, v[15:16]
	v_mad_u64_u32 v[14:15], s[0:1], s3, v14, v[2:3]
	v_add_u32_e32 v22, 0x3b8, v8
	v_mad_u64_u32 v[15:16], s[0:1], s2, v22, 0
	v_add_co_u32_e32 v0, vcc, v19, v0
	v_addc_co_u32_e32 v1, vcc, v20, v1, vcc
	v_pack_b32_f16 v21, v134, v133
	v_mov_b32_e32 v5, v14
	v_mov_b32_e32 v2, v16
	global_store_dword v[0:1], v21, off
	v_lshlrev_b64 v[0:1], 2, v[4:5]
	v_mad_u64_u32 v[4:5], s[0:1], s3, v22, v[2:3]
	v_add_u32_e32 v14, 0x42f, v8
	v_add_co_u32_e32 v0, vcc, v19, v0
	v_mov_b32_e32 v16, v4
	v_mad_u64_u32 v[4:5], s[0:1], s2, v14, 0
	v_addc_co_u32_e32 v1, vcc, v20, v1, vcc
	v_pack_b32_f16 v2, v88, v82
	global_store_dword v[0:1], v2, off
	v_mov_b32_e32 v2, v5
	v_lshlrev_b64 v[0:1], 2, v[15:16]
	v_mad_u64_u32 v[14:15], s[0:1], s3, v14, v[2:3]
	v_add_u32_e32 v22, 0x4a6, v8
	v_mad_u64_u32 v[15:16], s[0:1], s2, v22, 0
	v_add_co_u32_e32 v0, vcc, v19, v0
	v_addc_co_u32_e32 v1, vcc, v20, v1, vcc
	v_pack_b32_f16 v21, v72, v62
	v_mov_b32_e32 v5, v14
	v_mov_b32_e32 v2, v16
	global_store_dword v[0:1], v21, off
	v_lshlrev_b64 v[0:1], 2, v[4:5]
	v_mad_u64_u32 v[4:5], s[0:1], s3, v22, v[2:3]
	v_add_u32_e32 v14, 0x51d, v8
	v_add_co_u32_e32 v0, vcc, v19, v0
	v_mov_b32_e32 v16, v4
	v_mad_u64_u32 v[4:5], s[0:1], s2, v14, 0
	v_addc_co_u32_e32 v1, vcc, v20, v1, vcc
	v_pack_b32_f16 v2, v49, v32
	global_store_dword v[0:1], v2, off
	v_mov_b32_e32 v2, v5
	v_lshlrev_b64 v[0:1], 2, v[15:16]
	v_mad_u64_u32 v[14:15], s[0:1], s3, v14, v[2:3]
	v_add_u32_e32 v22, 0x594, v8
	v_mad_u64_u32 v[15:16], s[0:1], s2, v22, 0
	v_add_co_u32_e32 v0, vcc, v19, v0
	v_addc_co_u32_e32 v1, vcc, v20, v1, vcc
	v_pack_b32_f16 v21, v25, v23
	v_mov_b32_e32 v5, v14
	v_mov_b32_e32 v2, v16
	global_store_dword v[0:1], v21, off
	v_lshlrev_b64 v[0:1], 2, v[4:5]
	v_mad_u64_u32 v[4:5], s[0:1], s3, v22, v[2:3]
	v_pack_b32_f16 v2, v18, v13
	v_add_u32_e32 v13, 0x60b, v8
	v_mov_b32_e32 v16, v4
	v_mad_u64_u32 v[4:5], s[0:1], s2, v13, 0
	v_add_co_u32_e32 v0, vcc, v19, v0
	v_addc_co_u32_e32 v1, vcc, v20, v1, vcc
	global_store_dword v[0:1], v2, off
	v_mov_b32_e32 v2, v5
	v_mad_u64_u32 v[13:14], s[0:1], s3, v13, v[2:3]
	v_add_u32_e32 v18, 0x682, v8
	v_lshlrev_b64 v[0:1], 2, v[15:16]
	v_mad_u64_u32 v[14:15], s[0:1], s2, v18, 0
	v_add_f16_e32 v27, v27, v30
	v_fma_f16 v30, v44, s9, v168
	v_add_f16_e32 v27, v27, v30
	v_add_co_u32_e32 v0, vcc, v19, v0
	v_addc_co_u32_e32 v1, vcc, v20, v1, vcc
	v_pack_b32_f16 v16, v27, v26
	v_mov_b32_e32 v5, v13
	v_mov_b32_e32 v2, v15
	global_store_dword v[0:1], v16, off
	v_lshlrev_b64 v[0:1], 2, v[4:5]
	v_mad_u64_u32 v[4:5], s[0:1], s3, v18, v[2:3]
	v_pack_b32_f16 v2, v17, v10
	v_add_u32_e32 v10, 0x6f9, v8
	v_mov_b32_e32 v15, v4
	v_mad_u64_u32 v[4:5], s[0:1], s2, v10, 0
	v_add_co_u32_e32 v0, vcc, v19, v0
	v_addc_co_u32_e32 v1, vcc, v20, v1, vcc
	global_store_dword v[0:1], v2, off
	v_mov_b32_e32 v2, v5
	v_pack_b32_f16 v13, v12, v11
	v_mad_u64_u32 v[10:11], s[0:1], s3, v10, v[2:3]
	v_add_u32_e32 v8, 0x770, v8
	v_mad_u64_u32 v[11:12], s[0:1], s2, v8, 0
	v_lshlrev_b64 v[0:1], 2, v[14:15]
	v_mov_b32_e32 v5, v10
	v_add_co_u32_e32 v0, vcc, v19, v0
	v_addc_co_u32_e32 v1, vcc, v20, v1, vcc
	v_mov_b32_e32 v2, v12
	global_store_dword v[0:1], v13, off
	v_lshlrev_b64 v[0:1], 2, v[4:5]
	v_mad_u64_u32 v[4:5], s[0:1], s3, v8, v[2:3]
	v_add_co_u32_e32 v0, vcc, v19, v0
	v_addc_co_u32_e32 v1, vcc, v20, v1, vcc
	v_pack_b32_f16 v2, v9, v7
	v_mov_b32_e32 v12, v4
	global_store_dword v[0:1], v2, off
	v_lshlrev_b64 v[0:1], 2, v[11:12]
	v_pack_b32_f16 v2, v6, v3
	v_add_co_u32_e32 v0, vcc, v19, v0
	v_addc_co_u32_e32 v1, vcc, v20, v1, vcc
	global_store_dword v[0:1], v2, off
.LBB0_23:
	s_endpgm
	.section	.rodata,"a",@progbits
	.p2align	6, 0x0
	.amdhsa_kernel fft_rtc_fwd_len2023_factors_17_7_17_wgs_119_tpt_119_halfLds_half_op_CI_CI_sbrr_dirReg
		.amdhsa_group_segment_fixed_size 0
		.amdhsa_private_segment_fixed_size 0
		.amdhsa_kernarg_size 104
		.amdhsa_user_sgpr_count 6
		.amdhsa_user_sgpr_private_segment_buffer 1
		.amdhsa_user_sgpr_dispatch_ptr 0
		.amdhsa_user_sgpr_queue_ptr 0
		.amdhsa_user_sgpr_kernarg_segment_ptr 1
		.amdhsa_user_sgpr_dispatch_id 0
		.amdhsa_user_sgpr_flat_scratch_init 0
		.amdhsa_user_sgpr_private_segment_size 0
		.amdhsa_uses_dynamic_stack 0
		.amdhsa_system_sgpr_private_segment_wavefront_offset 0
		.amdhsa_system_sgpr_workgroup_id_x 1
		.amdhsa_system_sgpr_workgroup_id_y 0
		.amdhsa_system_sgpr_workgroup_id_z 0
		.amdhsa_system_sgpr_workgroup_info 0
		.amdhsa_system_vgpr_workitem_id 0
		.amdhsa_next_free_vgpr 180
		.amdhsa_next_free_sgpr 49
		.amdhsa_reserve_vcc 1
		.amdhsa_reserve_flat_scratch 0
		.amdhsa_float_round_mode_32 0
		.amdhsa_float_round_mode_16_64 0
		.amdhsa_float_denorm_mode_32 3
		.amdhsa_float_denorm_mode_16_64 3
		.amdhsa_dx10_clamp 1
		.amdhsa_ieee_mode 1
		.amdhsa_fp16_overflow 0
		.amdhsa_exception_fp_ieee_invalid_op 0
		.amdhsa_exception_fp_denorm_src 0
		.amdhsa_exception_fp_ieee_div_zero 0
		.amdhsa_exception_fp_ieee_overflow 0
		.amdhsa_exception_fp_ieee_underflow 0
		.amdhsa_exception_fp_ieee_inexact 0
		.amdhsa_exception_int_div_zero 0
	.end_amdhsa_kernel
	.text
.Lfunc_end0:
	.size	fft_rtc_fwd_len2023_factors_17_7_17_wgs_119_tpt_119_halfLds_half_op_CI_CI_sbrr_dirReg, .Lfunc_end0-fft_rtc_fwd_len2023_factors_17_7_17_wgs_119_tpt_119_halfLds_half_op_CI_CI_sbrr_dirReg
                                        ; -- End function
	.section	.AMDGPU.csdata,"",@progbits
; Kernel info:
; codeLenInByte = 16856
; NumSgprs: 53
; NumVgprs: 180
; ScratchSize: 0
; MemoryBound: 0
; FloatMode: 240
; IeeeMode: 1
; LDSByteSize: 0 bytes/workgroup (compile time only)
; SGPRBlocks: 6
; VGPRBlocks: 44
; NumSGPRsForWavesPerEU: 53
; NumVGPRsForWavesPerEU: 180
; Occupancy: 1
; WaveLimiterHint : 1
; COMPUTE_PGM_RSRC2:SCRATCH_EN: 0
; COMPUTE_PGM_RSRC2:USER_SGPR: 6
; COMPUTE_PGM_RSRC2:TRAP_HANDLER: 0
; COMPUTE_PGM_RSRC2:TGID_X_EN: 1
; COMPUTE_PGM_RSRC2:TGID_Y_EN: 0
; COMPUTE_PGM_RSRC2:TGID_Z_EN: 0
; COMPUTE_PGM_RSRC2:TIDIG_COMP_CNT: 0
	.type	__hip_cuid_2d633ecf9d8c8cf,@object ; @__hip_cuid_2d633ecf9d8c8cf
	.section	.bss,"aw",@nobits
	.globl	__hip_cuid_2d633ecf9d8c8cf
__hip_cuid_2d633ecf9d8c8cf:
	.byte	0                               ; 0x0
	.size	__hip_cuid_2d633ecf9d8c8cf, 1

	.ident	"AMD clang version 19.0.0git (https://github.com/RadeonOpenCompute/llvm-project roc-6.4.0 25133 c7fe45cf4b819c5991fe208aaa96edf142730f1d)"
	.section	".note.GNU-stack","",@progbits
	.addrsig
	.addrsig_sym __hip_cuid_2d633ecf9d8c8cf
	.amdgpu_metadata
---
amdhsa.kernels:
  - .args:
      - .actual_access:  read_only
        .address_space:  global
        .offset:         0
        .size:           8
        .value_kind:     global_buffer
      - .offset:         8
        .size:           8
        .value_kind:     by_value
      - .actual_access:  read_only
        .address_space:  global
        .offset:         16
        .size:           8
        .value_kind:     global_buffer
      - .actual_access:  read_only
        .address_space:  global
        .offset:         24
        .size:           8
        .value_kind:     global_buffer
      - .actual_access:  read_only
        .address_space:  global
        .offset:         32
        .size:           8
        .value_kind:     global_buffer
      - .offset:         40
        .size:           8
        .value_kind:     by_value
      - .actual_access:  read_only
        .address_space:  global
        .offset:         48
        .size:           8
        .value_kind:     global_buffer
      - .actual_access:  read_only
        .address_space:  global
        .offset:         56
        .size:           8
        .value_kind:     global_buffer
      - .offset:         64
        .size:           4
        .value_kind:     by_value
      - .actual_access:  read_only
        .address_space:  global
        .offset:         72
        .size:           8
        .value_kind:     global_buffer
      - .actual_access:  read_only
        .address_space:  global
        .offset:         80
        .size:           8
        .value_kind:     global_buffer
      - .actual_access:  read_only
        .address_space:  global
        .offset:         88
        .size:           8
        .value_kind:     global_buffer
      - .actual_access:  write_only
        .address_space:  global
        .offset:         96
        .size:           8
        .value_kind:     global_buffer
    .group_segment_fixed_size: 0
    .kernarg_segment_align: 8
    .kernarg_segment_size: 104
    .language:       OpenCL C
    .language_version:
      - 2
      - 0
    .max_flat_workgroup_size: 119
    .name:           fft_rtc_fwd_len2023_factors_17_7_17_wgs_119_tpt_119_halfLds_half_op_CI_CI_sbrr_dirReg
    .private_segment_fixed_size: 0
    .sgpr_count:     53
    .sgpr_spill_count: 0
    .symbol:         fft_rtc_fwd_len2023_factors_17_7_17_wgs_119_tpt_119_halfLds_half_op_CI_CI_sbrr_dirReg.kd
    .uniform_work_group_size: 1
    .uses_dynamic_stack: false
    .vgpr_count:     180
    .vgpr_spill_count: 0
    .wavefront_size: 64
amdhsa.target:   amdgcn-amd-amdhsa--gfx906
amdhsa.version:
  - 1
  - 2
...

	.end_amdgpu_metadata
